;; amdgpu-corpus repo=ROCm/rocFFT kind=compiled arch=gfx1030 opt=O3
	.text
	.amdgcn_target "amdgcn-amd-amdhsa--gfx1030"
	.amdhsa_code_object_version 6
	.protected	fft_rtc_fwd_len1859_factors_13_11_13_wgs_169_tpt_169_halfLds_dp_ip_CI_unitstride_sbrr_dirReg ; -- Begin function fft_rtc_fwd_len1859_factors_13_11_13_wgs_169_tpt_169_halfLds_dp_ip_CI_unitstride_sbrr_dirReg
	.globl	fft_rtc_fwd_len1859_factors_13_11_13_wgs_169_tpt_169_halfLds_dp_ip_CI_unitstride_sbrr_dirReg
	.p2align	8
	.type	fft_rtc_fwd_len1859_factors_13_11_13_wgs_169_tpt_169_halfLds_dp_ip_CI_unitstride_sbrr_dirReg,@function
fft_rtc_fwd_len1859_factors_13_11_13_wgs_169_tpt_169_halfLds_dp_ip_CI_unitstride_sbrr_dirReg: ; @fft_rtc_fwd_len1859_factors_13_11_13_wgs_169_tpt_169_halfLds_dp_ip_CI_unitstride_sbrr_dirReg
; %bb.0:
	s_clause 0x2
	s_load_dwordx4 s[8:11], s[4:5], 0x0
	s_load_dwordx2 s[2:3], s[4:5], 0x50
	s_load_dwordx2 s[12:13], s[4:5], 0x18
	v_mul_u32_u24_e32 v1, 0x184, v0
	v_mov_b32_e32 v3, 0
	v_add_nc_u32_sdwa v5, s6, v1 dst_sel:DWORD dst_unused:UNUSED_PAD src0_sel:DWORD src1_sel:WORD_1
	v_mov_b32_e32 v1, 0
	v_mov_b32_e32 v6, v3
	v_mov_b32_e32 v2, 0
	s_waitcnt lgkmcnt(0)
	v_cmp_lt_u64_e64 s0, s[10:11], 2
	s_and_b32 vcc_lo, exec_lo, s0
	s_cbranch_vccnz .LBB0_8
; %bb.1:
	s_load_dwordx2 s[0:1], s[4:5], 0x10
	v_mov_b32_e32 v1, 0
	s_add_u32 s6, s12, 8
	v_mov_b32_e32 v2, 0
	s_addc_u32 s7, s13, 0
	s_mov_b64 s[16:17], 1
	s_waitcnt lgkmcnt(0)
	s_add_u32 s14, s0, 8
	s_addc_u32 s15, s1, 0
.LBB0_2:                                ; =>This Inner Loop Header: Depth=1
	s_load_dwordx2 s[18:19], s[14:15], 0x0
                                        ; implicit-def: $vgpr7_vgpr8
	s_mov_b32 s0, exec_lo
	s_waitcnt lgkmcnt(0)
	v_or_b32_e32 v4, s19, v6
	v_cmpx_ne_u64_e32 0, v[3:4]
	s_xor_b32 s1, exec_lo, s0
	s_cbranch_execz .LBB0_4
; %bb.3:                                ;   in Loop: Header=BB0_2 Depth=1
	v_cvt_f32_u32_e32 v4, s18
	v_cvt_f32_u32_e32 v7, s19
	s_sub_u32 s0, 0, s18
	s_subb_u32 s20, 0, s19
	v_fmac_f32_e32 v4, 0x4f800000, v7
	v_rcp_f32_e32 v4, v4
	v_mul_f32_e32 v4, 0x5f7ffffc, v4
	v_mul_f32_e32 v7, 0x2f800000, v4
	v_trunc_f32_e32 v7, v7
	v_fmac_f32_e32 v4, 0xcf800000, v7
	v_cvt_u32_f32_e32 v7, v7
	v_cvt_u32_f32_e32 v4, v4
	v_mul_lo_u32 v8, s0, v7
	v_mul_hi_u32 v9, s0, v4
	v_mul_lo_u32 v10, s20, v4
	v_add_nc_u32_e32 v8, v9, v8
	v_mul_lo_u32 v9, s0, v4
	v_add_nc_u32_e32 v8, v8, v10
	v_mul_hi_u32 v10, v4, v9
	v_mul_lo_u32 v11, v4, v8
	v_mul_hi_u32 v12, v4, v8
	v_mul_hi_u32 v13, v7, v9
	v_mul_lo_u32 v9, v7, v9
	v_mul_hi_u32 v14, v7, v8
	v_mul_lo_u32 v8, v7, v8
	v_add_co_u32 v10, vcc_lo, v10, v11
	v_add_co_ci_u32_e32 v11, vcc_lo, 0, v12, vcc_lo
	v_add_co_u32 v9, vcc_lo, v10, v9
	v_add_co_ci_u32_e32 v9, vcc_lo, v11, v13, vcc_lo
	v_add_co_ci_u32_e32 v10, vcc_lo, 0, v14, vcc_lo
	v_add_co_u32 v8, vcc_lo, v9, v8
	v_add_co_ci_u32_e32 v9, vcc_lo, 0, v10, vcc_lo
	v_add_co_u32 v4, vcc_lo, v4, v8
	v_add_co_ci_u32_e32 v7, vcc_lo, v7, v9, vcc_lo
	v_mul_hi_u32 v8, s0, v4
	v_mul_lo_u32 v10, s20, v4
	v_mul_lo_u32 v9, s0, v7
	v_add_nc_u32_e32 v8, v8, v9
	v_mul_lo_u32 v9, s0, v4
	v_add_nc_u32_e32 v8, v8, v10
	v_mul_hi_u32 v10, v4, v9
	v_mul_lo_u32 v11, v4, v8
	v_mul_hi_u32 v12, v4, v8
	v_mul_hi_u32 v13, v7, v9
	v_mul_lo_u32 v9, v7, v9
	v_mul_hi_u32 v14, v7, v8
	v_mul_lo_u32 v8, v7, v8
	v_add_co_u32 v10, vcc_lo, v10, v11
	v_add_co_ci_u32_e32 v11, vcc_lo, 0, v12, vcc_lo
	v_add_co_u32 v9, vcc_lo, v10, v9
	v_add_co_ci_u32_e32 v9, vcc_lo, v11, v13, vcc_lo
	v_add_co_ci_u32_e32 v10, vcc_lo, 0, v14, vcc_lo
	v_add_co_u32 v8, vcc_lo, v9, v8
	v_add_co_ci_u32_e32 v9, vcc_lo, 0, v10, vcc_lo
	v_add_co_u32 v4, vcc_lo, v4, v8
	v_add_co_ci_u32_e32 v11, vcc_lo, v7, v9, vcc_lo
	v_mul_hi_u32 v13, v5, v4
	v_mad_u64_u32 v[9:10], null, v6, v4, 0
	v_mad_u64_u32 v[7:8], null, v5, v11, 0
	;; [unrolled: 1-line block ×3, first 2 shown]
	v_add_co_u32 v4, vcc_lo, v13, v7
	v_add_co_ci_u32_e32 v7, vcc_lo, 0, v8, vcc_lo
	v_add_co_u32 v4, vcc_lo, v4, v9
	v_add_co_ci_u32_e32 v4, vcc_lo, v7, v10, vcc_lo
	v_add_co_ci_u32_e32 v7, vcc_lo, 0, v12, vcc_lo
	v_add_co_u32 v4, vcc_lo, v4, v11
	v_add_co_ci_u32_e32 v9, vcc_lo, 0, v7, vcc_lo
	v_mul_lo_u32 v10, s19, v4
	v_mad_u64_u32 v[7:8], null, s18, v4, 0
	v_mul_lo_u32 v11, s18, v9
	v_sub_co_u32 v7, vcc_lo, v5, v7
	v_add3_u32 v8, v8, v11, v10
	v_sub_nc_u32_e32 v10, v6, v8
	v_subrev_co_ci_u32_e64 v10, s0, s19, v10, vcc_lo
	v_add_co_u32 v11, s0, v4, 2
	v_add_co_ci_u32_e64 v12, s0, 0, v9, s0
	v_sub_co_u32 v13, s0, v7, s18
	v_sub_co_ci_u32_e32 v8, vcc_lo, v6, v8, vcc_lo
	v_subrev_co_ci_u32_e64 v10, s0, 0, v10, s0
	v_cmp_le_u32_e32 vcc_lo, s18, v13
	v_cmp_eq_u32_e64 s0, s19, v8
	v_cndmask_b32_e64 v13, 0, -1, vcc_lo
	v_cmp_le_u32_e32 vcc_lo, s19, v10
	v_cndmask_b32_e64 v14, 0, -1, vcc_lo
	v_cmp_le_u32_e32 vcc_lo, s18, v7
	;; [unrolled: 2-line block ×3, first 2 shown]
	v_cndmask_b32_e64 v15, 0, -1, vcc_lo
	v_cmp_eq_u32_e32 vcc_lo, s19, v10
	v_cndmask_b32_e64 v7, v15, v7, s0
	v_cndmask_b32_e32 v10, v14, v13, vcc_lo
	v_add_co_u32 v13, vcc_lo, v4, 1
	v_add_co_ci_u32_e32 v14, vcc_lo, 0, v9, vcc_lo
	v_cmp_ne_u32_e32 vcc_lo, 0, v10
	v_cndmask_b32_e32 v8, v14, v12, vcc_lo
	v_cndmask_b32_e32 v10, v13, v11, vcc_lo
	v_cmp_ne_u32_e32 vcc_lo, 0, v7
	v_cndmask_b32_e32 v8, v9, v8, vcc_lo
	v_cndmask_b32_e32 v7, v4, v10, vcc_lo
.LBB0_4:                                ;   in Loop: Header=BB0_2 Depth=1
	s_andn2_saveexec_b32 s0, s1
	s_cbranch_execz .LBB0_6
; %bb.5:                                ;   in Loop: Header=BB0_2 Depth=1
	v_cvt_f32_u32_e32 v4, s18
	s_sub_i32 s1, 0, s18
	v_rcp_iflag_f32_e32 v4, v4
	v_mul_f32_e32 v4, 0x4f7ffffe, v4
	v_cvt_u32_f32_e32 v4, v4
	v_mul_lo_u32 v7, s1, v4
	v_mul_hi_u32 v7, v4, v7
	v_add_nc_u32_e32 v4, v4, v7
	v_mul_hi_u32 v4, v5, v4
	v_mul_lo_u32 v7, v4, s18
	v_add_nc_u32_e32 v8, 1, v4
	v_sub_nc_u32_e32 v7, v5, v7
	v_subrev_nc_u32_e32 v9, s18, v7
	v_cmp_le_u32_e32 vcc_lo, s18, v7
	v_cndmask_b32_e32 v7, v7, v9, vcc_lo
	v_cndmask_b32_e32 v4, v4, v8, vcc_lo
	v_cmp_le_u32_e32 vcc_lo, s18, v7
	v_add_nc_u32_e32 v8, 1, v4
	v_cndmask_b32_e32 v7, v4, v8, vcc_lo
	v_mov_b32_e32 v8, v3
.LBB0_6:                                ;   in Loop: Header=BB0_2 Depth=1
	s_or_b32 exec_lo, exec_lo, s0
	s_load_dwordx2 s[0:1], s[6:7], 0x0
	v_mul_lo_u32 v4, v8, s18
	v_mul_lo_u32 v11, v7, s19
	v_mad_u64_u32 v[9:10], null, v7, s18, 0
	s_add_u32 s16, s16, 1
	s_addc_u32 s17, s17, 0
	s_add_u32 s6, s6, 8
	s_addc_u32 s7, s7, 0
	;; [unrolled: 2-line block ×3, first 2 shown]
	v_add3_u32 v4, v10, v11, v4
	v_sub_co_u32 v5, vcc_lo, v5, v9
	v_sub_co_ci_u32_e32 v4, vcc_lo, v6, v4, vcc_lo
	s_waitcnt lgkmcnt(0)
	v_mul_lo_u32 v6, s1, v5
	v_mul_lo_u32 v4, s0, v4
	v_mad_u64_u32 v[1:2], null, s0, v5, v[1:2]
	v_cmp_ge_u64_e64 s0, s[16:17], s[10:11]
	s_and_b32 vcc_lo, exec_lo, s0
	v_add3_u32 v2, v6, v2, v4
	s_cbranch_vccnz .LBB0_9
; %bb.7:                                ;   in Loop: Header=BB0_2 Depth=1
	v_mov_b32_e32 v5, v7
	v_mov_b32_e32 v6, v8
	s_branch .LBB0_2
.LBB0_8:
	v_mov_b32_e32 v8, v6
	v_mov_b32_e32 v7, v5
.LBB0_9:
	s_lshl_b64 s[0:1], s[10:11], 3
	v_mul_hi_u32 v3, 0x183c978, v0
	s_add_u32 s0, s12, s0
	s_addc_u32 s1, s13, s1
                                        ; implicit-def: $vgpr10_vgpr11
                                        ; implicit-def: $vgpr16_vgpr17
                                        ; implicit-def: $vgpr20_vgpr21
                                        ; implicit-def: $vgpr32_vgpr33
                                        ; implicit-def: $vgpr36_vgpr37
                                        ; implicit-def: $vgpr24_vgpr25
                                        ; implicit-def: $vgpr28_vgpr29
                                        ; implicit-def: $vgpr40_vgpr41
                                        ; implicit-def: $vgpr44_vgpr45
                                        ; implicit-def: $vgpr52_vgpr53
                                        ; implicit-def: $vgpr56_vgpr57
                                        ; implicit-def: $vgpr48_vgpr49
	s_load_dwordx2 s[0:1], s[0:1], 0x0
	s_load_dwordx2 s[4:5], s[4:5], 0x20
	v_mul_u32_u24_e32 v3, 0xa9, v3
	v_sub_nc_u32_e32 v78, v0, v3
	v_cmp_gt_u32_e32 vcc_lo, 0x8f, v78
	s_waitcnt lgkmcnt(0)
	v_mul_lo_u32 v4, s0, v8
	v_mul_lo_u32 v5, s1, v7
	v_mad_u64_u32 v[1:2], null, s0, v7, v[1:2]
	v_cmp_gt_u64_e64 s0, s[4:5], v[7:8]
                                        ; implicit-def: $vgpr6_vgpr7
	s_and_b32 s33, s0, vcc_lo
	v_add3_u32 v2, v5, v2, v4
	v_lshlrev_b64 v[80:81], 4, v[1:2]
	s_and_saveexec_b32 s1, s33
	s_cbranch_execz .LBB0_11
; %bb.10:
	v_mov_b32_e32 v79, 0
	v_add_co_u32 v2, s0, s2, v80
	v_add_co_ci_u32_e64 v3, s0, s3, v81, s0
	v_lshlrev_b64 v[0:1], 4, v[78:79]
	v_add_co_u32 v0, s0, v2, v0
	v_add_co_ci_u32_e64 v1, s0, v3, v1, s0
	v_add_co_u32 v2, s0, 0x800, v0
	v_add_co_ci_u32_e64 v3, s0, 0, v1, s0
	v_add_co_u32 v8, s0, 0x1000, v0
	v_add_co_ci_u32_e64 v9, s0, 0, v1, s0
	s_clause 0x1
	global_load_dwordx4 v[4:7], v[0:1], off
	global_load_dwordx4 v[46:49], v[2:3], off offset:240
	v_add_co_u32 v2, s0, 0x1800, v0
	v_add_co_ci_u32_e64 v3, s0, 0, v1, s0
	v_add_co_u32 v10, s0, 0x2000, v0
	v_add_co_ci_u32_e64 v11, s0, 0, v1, s0
	;; [unrolled: 2-line block ×5, first 2 shown]
	s_clause 0x5
	global_load_dwordx4 v[54:57], v[8:9], off offset:480
	global_load_dwordx4 v[50:53], v[2:3], off offset:720
	;; [unrolled: 1-line block ×6, first 2 shown]
	v_add_co_u32 v2, s0, 0x4000, v0
	v_add_co_ci_u32_e64 v3, s0, 0, v1, s0
	v_add_co_u32 v8, s0, 0x5000, v0
	v_add_co_ci_u32_e64 v9, s0, 0, v1, s0
	;; [unrolled: 2-line block ×5, first 2 shown]
	s_clause 0x4
	global_load_dwordx4 v[34:37], v[2:3], off offset:1920
	global_load_dwordx4 v[30:33], v[8:9], off offset:112
	;; [unrolled: 1-line block ×5, first 2 shown]
.LBB0_11:
	s_or_b32 exec_lo, exec_lo, s1
	s_waitcnt vmcnt(0)
	v_add_f64 v[0:1], v[8:9], v[46:47]
	s_mov_b32 s0, 0xe00740e9
	s_mov_b32 s4, 0x1ea71119
	;; [unrolled: 1-line block ×4, first 2 shown]
	v_add_f64 v[58:59], v[48:49], -v[10:11]
	v_add_f64 v[12:13], v[14:15], v[54:55]
	s_mov_b32 s22, 0x4267c47c
	s_mov_b32 s18, 0x42a4c3d2
	;; [unrolled: 1-line block ×6, first 2 shown]
	v_add_f64 v[76:77], v[56:57], -v[16:17]
	v_add_f64 v[62:63], v[18:19], v[50:51]
	s_mov_b32 s16, 0x2ef20147
	s_mov_b32 s10, 0xebaa3ed8
	;; [unrolled: 1-line block ×6, first 2 shown]
	v_add_f64 v[90:91], v[52:53], -v[20:21]
	v_mul_f64 v[60:61], v[0:1], s[0:1]
	v_mul_f64 v[66:67], v[0:1], s[4:5]
	v_add_f64 v[64:65], v[30:31], v[42:43]
	s_mov_b32 s24, 0x66966769
	s_mov_b32 s20, 0x4bc48dbf
	;; [unrolled: 1-line block ×3, first 2 shown]
	v_mul_f64 v[72:73], v[12:13], s[4:5]
	v_mul_f64 v[74:75], v[12:13], s[6:7]
	s_mov_b32 s25, 0xbfefc445
	s_mov_b32 s21, 0xbfcea1e5
	;; [unrolled: 1-line block ×3, first 2 shown]
	v_add_f64 v[100:101], v[44:45], -v[32:33]
	v_add_f64 v[70:71], v[34:35], v[38:39]
	s_mov_b32 s26, 0x24c2f84
	v_mul_f64 v[86:87], v[62:63], s[10:11]
	v_mul_f64 v[88:89], v[62:63], s[12:13]
	s_mov_b32 s27, 0x3fe5384d
	v_add_f64 v[106:107], v[40:41], -v[36:37]
	s_mov_b32 s29, 0xbfe5384d
	s_mov_b32 s31, 0x3fefc445
	;; [unrolled: 1-line block ×4, first 2 shown]
	v_fma_f64 v[2:3], v[58:59], s[22:23], v[60:61]
	v_fma_f64 v[68:69], v[58:59], s[18:19], v[66:67]
	v_mul_f64 v[96:97], v[64:65], s[6:7]
	v_mul_f64 v[98:99], v[64:65], s[14:15]
	s_mov_b32 s35, 0x3fddbe06
	s_mov_b32 s34, s22
	v_fma_f64 v[82:83], v[76:77], s[18:19], v[72:73]
	v_fma_f64 v[84:85], v[76:77], s[16:17], v[74:75]
	v_mul_f64 v[92:93], v[70:71], s[14:15]
	v_mul_f64 v[102:103], v[70:71], s[10:11]
	v_fma_f64 v[94:95], v[90:91], s[24:25], v[86:87]
	v_fma_f64 v[104:105], v[90:91], s[20:21], v[88:89]
	v_add_f64 v[2:3], v[4:5], v[2:3]
	v_add_f64 v[68:69], v[4:5], v[68:69]
	v_fma_f64 v[108:109], v[100:101], s[16:17], v[96:97]
	v_fma_f64 v[110:111], v[100:101], s[26:27], v[98:99]
	;; [unrolled: 1-line block ×4, first 2 shown]
	v_add_f64 v[2:3], v[82:83], v[2:3]
	v_add_f64 v[82:83], v[84:85], v[68:69]
	;; [unrolled: 1-line block ×5, first 2 shown]
	v_add_f64 v[104:105], v[28:29], -v[24:25]
	v_mul_f64 v[84:85], v[68:69], s[12:13]
	v_mul_f64 v[94:95], v[68:69], s[0:1]
	v_add_f64 v[2:3], v[108:109], v[2:3]
	v_add_f64 v[82:83], v[110:111], v[82:83]
	v_fma_f64 v[108:109], v[104:105], s[20:21], v[84:85]
	v_fma_f64 v[110:111], v[104:105], s[34:35], v[94:95]
	v_add_f64 v[2:3], v[112:113], v[2:3]
	v_add_f64 v[112:113], v[114:115], v[82:83]
	;; [unrolled: 1-line block ×4, first 2 shown]
	s_and_saveexec_b32 s38, vcc_lo
	s_cbranch_execz .LBB0_13
; %bb.12:
	v_add_f64 v[108:109], v[46:47], v[4:5]
	v_mul_f64 v[120:121], v[58:59], s[24:25]
	v_mul_f64 v[142:143], v[58:59], s[18:19]
	;; [unrolled: 1-line block ×12, first 2 shown]
	s_mov_b32 s43, 0x3fedeba7
	s_mov_b32 s42, s16
	v_mul_f64 v[122:123], v[90:91], s[28:29]
	v_mul_f64 v[124:125], v[90:91], s[18:19]
	v_mul_f64 v[126:127], v[90:91], s[34:35]
	v_mul_f64 v[140:141], v[90:91], s[20:21]
	v_mul_f64 v[162:163], v[90:91], s[24:25]
	v_mul_f64 v[90:91], v[90:91], s[42:43]
	s_mov_b32 s37, 0x3fea55e2
	v_add_f64 v[108:109], v[54:55], v[108:109]
	v_fma_f64 v[174:175], v[0:1], s[10:11], -v[120:121]
	v_add_f64 v[66:67], v[66:67], -v[142:143]
	v_fma_f64 v[170:171], v[0:1], s[12:13], v[114:115]
	v_fma_f64 v[114:115], v[0:1], s[12:13], -v[114:115]
	v_fma_f64 v[172:173], v[0:1], s[14:15], v[116:117]
	v_fma_f64 v[116:117], v[0:1], s[14:15], -v[116:117]
	v_fma_f64 v[142:143], v[0:1], s[6:7], -v[118:119]
	v_fma_f64 v[118:119], v[0:1], s[6:7], v[118:119]
	v_fma_f64 v[0:1], v[0:1], s[10:11], v[120:121]
	v_add_f64 v[58:59], v[60:61], -v[58:59]
	v_fma_f64 v[120:121], v[12:13], s[0:1], -v[128:129]
	v_fma_f64 v[176:177], v[12:13], s[14:15], v[132:133]
	v_fma_f64 v[132:133], v[12:13], s[14:15], -v[132:133]
	v_fma_f64 v[178:179], v[12:13], s[12:13], v[134:135]
	v_add_f64 v[74:75], v[74:75], -v[144:145]
	v_add_f64 v[72:73], v[72:73], -v[76:77]
	s_mov_b32 s36, s18
	s_mov_b32 s41, 0x3fcea1e5
	;; [unrolled: 1-line block ×3, first 2 shown]
	v_mul_f64 v[110:111], v[100:101], s[24:25]
	v_mul_f64 v[112:113], v[100:101], s[34:35]
	v_add_f64 v[108:109], v[50:51], v[108:109]
	v_add_f64 v[144:145], v[4:5], v[174:175]
	v_add_f64 v[66:67], v[4:5], v[66:67]
	v_add_f64 v[76:77], v[4:5], v[170:171]
	v_add_f64 v[114:115], v[4:5], v[114:115]
	v_mul_f64 v[146:147], v[100:101], s[26:27]
	v_add_f64 v[116:117], v[4:5], v[116:117]
	v_add_f64 v[142:143], v[4:5], v[142:143]
	;; [unrolled: 1-line block ×4, first 2 shown]
	v_mul_f64 v[164:165], v[100:101], s[16:17]
	v_mul_f64 v[168:169], v[100:101], s[36:37]
	v_fma_f64 v[170:171], v[62:63], s[4:5], v[124:125]
	v_fma_f64 v[124:125], v[62:63], s[4:5], -v[124:125]
	v_add_f64 v[88:89], v[88:89], -v[140:141]
	v_fma_f64 v[140:141], v[62:63], s[6:7], v[90:91]
	v_add_f64 v[86:87], v[86:87], -v[162:163]
	v_mul_f64 v[138:139], v[106:107], s[30:31]
	v_mul_f64 v[152:153], v[106:107], s[18:19]
	;; [unrolled: 1-line block ×5, first 2 shown]
	v_add_f64 v[108:109], v[42:43], v[108:109]
	v_mul_f64 v[136:137], v[104:105], s[34:35]
	v_add_f64 v[66:67], v[74:75], v[66:67]
	v_mul_f64 v[158:159], v[104:105], s[28:29]
	v_mul_f64 v[154:155], v[104:105], s[30:31]
	v_add_f64 v[98:99], v[98:99], -v[146:147]
	v_mul_f64 v[156:157], v[104:105], s[16:17]
	v_add_f64 v[74:75], v[132:133], v[142:143]
	v_mul_f64 v[160:161], v[104:105], s[20:21]
	v_add_f64 v[0:1], v[178:179], v[0:1]
	v_add_f64 v[96:97], v[96:97], -v[164:165]
	v_add_f64 v[92:93], v[92:93], -v[166:167]
	v_add_f64 v[108:109], v[38:39], v[108:109]
	v_add_f64 v[84:85], v[84:85], -v[160:161]
	v_add_f64 v[0:1], v[140:141], v[0:1]
	v_add_f64 v[60:61], v[26:27], v[108:109]
	v_fma_f64 v[108:109], v[12:13], s[0:1], v[128:129]
	v_fma_f64 v[128:129], v[12:13], s[10:11], v[130:131]
	v_fma_f64 v[130:131], v[12:13], s[10:11], -v[130:131]
	v_fma_f64 v[12:13], v[12:13], s[12:13], -v[134:135]
	v_add_f64 v[134:135], v[4:5], v[172:173]
	v_add_f64 v[4:5], v[4:5], v[58:59]
	v_fma_f64 v[172:173], v[62:63], s[0:1], v[126:127]
	v_fma_f64 v[126:127], v[62:63], s[0:1], -v[126:127]
	v_add_f64 v[58:59], v[22:23], v[60:61]
	v_mul_f64 v[60:61], v[100:101], s[40:41]
	v_fma_f64 v[100:101], v[62:63], s[14:15], v[122:123]
	v_fma_f64 v[122:123], v[62:63], s[14:15], -v[122:123]
	v_fma_f64 v[62:63], v[62:63], s[6:7], -v[90:91]
	v_add_f64 v[12:13], v[12:13], v[144:145]
	v_add_f64 v[76:77], v[108:109], v[76:77]
	;; [unrolled: 1-line block ×7, first 2 shown]
	v_fma_f64 v[118:119], v[64:65], s[0:1], v[112:113]
	v_fma_f64 v[112:113], v[64:65], s[0:1], -v[112:113]
	v_mul_f64 v[72:73], v[106:107], s[40:41]
	v_fma_f64 v[106:107], v[64:65], s[10:11], v[110:111]
	v_fma_f64 v[110:111], v[64:65], s[10:11], -v[110:111]
	v_fma_f64 v[120:121], v[64:65], s[4:5], v[168:169]
	v_fma_f64 v[128:129], v[64:65], s[4:5], -v[168:169]
	v_add_f64 v[58:59], v[34:35], v[58:59]
	v_fma_f64 v[130:131], v[64:65], s[12:13], v[60:61]
	v_fma_f64 v[60:61], v[64:65], s[12:13], -v[60:61]
	v_add_f64 v[12:13], v[62:63], v[12:13]
	v_add_f64 v[62:63], v[88:89], v[66:67]
	v_add_f64 v[64:65], v[100:101], v[76:77]
	v_add_f64 v[100:101], v[124:125], v[114:115]
	v_add_f64 v[66:67], v[126:127], v[74:75]
	v_add_f64 v[76:77], v[122:123], v[90:91]
	v_add_f64 v[90:91], v[170:171], v[108:109]
	v_add_f64 v[74:75], v[172:173], v[116:117]
	v_add_f64 v[4:5], v[86:87], v[4:5]
	v_add_f64 v[88:89], v[102:103], -v[138:139]
	v_fma_f64 v[122:123], v[70:71], s[4:5], -v[152:153]
	v_mul_f64 v[86:87], v[104:105], s[36:37]
	v_fma_f64 v[102:103], v[70:71], s[6:7], v[148:149]
	v_fma_f64 v[104:105], v[70:71], s[6:7], -v[148:149]
	v_fma_f64 v[108:109], v[70:71], s[0:1], v[150:151]
	v_fma_f64 v[114:115], v[70:71], s[0:1], -v[150:151]
	v_fma_f64 v[116:117], v[70:71], s[4:5], v[152:153]
	v_add_f64 v[58:59], v[30:31], v[58:59]
	v_fma_f64 v[124:125], v[70:71], s[12:13], v[72:73]
	v_fma_f64 v[70:71], v[70:71], s[12:13], -v[72:73]
	v_add_f64 v[0:1], v[118:119], v[0:1]
	v_add_f64 v[12:13], v[112:113], v[12:13]
	;; [unrolled: 1-line block ×10, first 2 shown]
	v_add_f64 v[90:91], v[94:95], -v[136:137]
	v_fma_f64 v[110:111], v[68:69], s[14:15], -v[158:159]
	v_fma_f64 v[94:95], v[68:69], s[10:11], v[154:155]
	v_fma_f64 v[96:97], v[68:69], s[10:11], -v[154:155]
	v_fma_f64 v[98:99], v[68:69], s[6:7], v[156:157]
	;; [unrolled: 2-line block ×3, first 2 shown]
	v_fma_f64 v[112:113], v[68:69], s[4:5], v[86:87]
	v_add_f64 v[58:59], v[18:19], v[58:59]
	v_fma_f64 v[68:69], v[68:69], s[4:5], -v[86:87]
	v_add_f64 v[0:1], v[116:117], v[0:1]
	v_add_f64 v[12:13], v[122:123], v[12:13]
	v_add_f64 v[62:63], v[88:89], v[62:63]
	v_add_f64 v[64:65], v[102:103], v[64:65]
	v_add_f64 v[60:61], v[114:115], v[60:61]
	v_add_f64 v[66:67], v[70:71], v[66:67]
	v_add_f64 v[72:73], v[104:105], v[72:73]
	v_add_f64 v[76:77], v[108:109], v[76:77]
	v_add_f64 v[70:71], v[124:125], v[74:75]
	v_add_f64 v[4:5], v[92:93], v[4:5]
	v_add_f64 v[58:59], v[14:15], v[58:59]
	v_add_f64 v[0:1], v[106:107], v[0:1]
	v_add_f64 v[12:13], v[110:111], v[12:13]
	v_add_f64 v[62:63], v[90:91], v[62:63]
	v_add_f64 v[64:65], v[94:95], v[64:65]
	v_add_f64 v[60:61], v[100:101], v[60:61]
	v_add_f64 v[66:67], v[68:69], v[66:67]
	v_add_f64 v[72:73], v[96:97], v[72:73]
	v_add_f64 v[74:75], v[98:99], v[76:77]
	v_add_f64 v[68:69], v[112:113], v[70:71]
	v_add_f64 v[4:5], v[84:85], v[4:5]
	v_mad_u32_u24 v70, 0x68, v78, 0
	v_add_f64 v[58:59], v[8:9], v[58:59]
	ds_write2_b64 v70, v[62:63], v[12:13] offset0:2 offset1:3
	ds_write2_b64 v70, v[66:67], v[60:61] offset0:4 offset1:5
	;; [unrolled: 1-line block ×5, first 2 shown]
	ds_write2_b64 v70, v[58:59], v[4:5] offset1:1
	ds_write_b64 v70, v[82:83] offset:96
.LBB0_13:
	s_or_b32 exec_lo, exec_lo, s38
	v_add_f64 v[106:107], v[46:47], -v[8:9]
	v_add_f64 v[102:103], v[54:55], -v[14:15]
	v_add_f64 v[84:85], v[10:11], v[48:49]
	v_add_f64 v[104:105], v[50:51], -v[18:19]
	v_add_f64 v[54:55], v[16:17], v[56:57]
	v_add_f64 v[46:47], v[20:21], v[52:53]
	v_add_f64 v[100:101], v[42:43], -v[30:31]
	v_add_f64 v[30:31], v[32:33], v[44:45]
	v_add_f64 v[98:99], v[38:39], -v[34:35]
	v_add_f64 v[34:35], v[26:27], -v[22:23]
	v_lshl_add_u32 v79, v78, 3, 0
	s_waitcnt lgkmcnt(0)
	s_barrier
	buffer_gl0_inv
	v_add_nc_u32_e32 v108, 0x800, v79
	v_add_nc_u32_e32 v110, 0x1e00, v79
	;; [unrolled: 1-line block ×4, first 2 shown]
	v_mul_f64 v[94:95], v[106:107], s[22:23]
	v_mul_f64 v[96:97], v[106:107], s[18:19]
	;; [unrolled: 1-line block ×10, first 2 shown]
	v_fma_f64 v[0:1], v[84:85], s[0:1], -v[94:95]
	v_fma_f64 v[4:5], v[84:85], s[4:5], -v[96:97]
	v_fma_f64 v[8:9], v[54:55], s[4:5], -v[90:91]
	v_fma_f64 v[12:13], v[54:55], s[6:7], -v[92:93]
	v_fma_f64 v[14:15], v[46:47], s[10:11], -v[86:87]
	v_fma_f64 v[18:19], v[46:47], s[12:13], -v[88:89]
	v_fma_f64 v[50:51], v[30:31], s[6:7], -v[38:39]
	v_fma_f64 v[58:59], v[30:31], s[14:15], -v[42:43]
	v_add_f64 v[0:1], v[6:7], v[0:1]
	v_add_f64 v[4:5], v[6:7], v[4:5]
	;; [unrolled: 1-line block ×5, first 2 shown]
	v_mul_f64 v[12:13], v[34:35], s[20:21]
	v_add_f64 v[0:1], v[14:15], v[0:1]
	v_add_f64 v[14:15], v[18:19], v[4:5]
	;; [unrolled: 1-line block ×3, first 2 shown]
	v_mul_f64 v[18:19], v[34:35], s[34:35]
	v_fma_f64 v[60:61], v[8:9], s[14:15], -v[22:23]
	v_fma_f64 v[62:63], v[8:9], s[10:11], -v[26:27]
	v_add_f64 v[0:1], v[50:51], v[0:1]
	v_add_f64 v[14:15], v[58:59], v[14:15]
	v_fma_f64 v[50:51], v[4:5], s[12:13], -v[12:13]
	v_fma_f64 v[64:65], v[4:5], s[0:1], -v[18:19]
	v_add_f64 v[0:1], v[60:61], v[0:1]
	v_add_f64 v[14:15], v[62:63], v[14:15]
	ds_read2_b64 v[58:61], v79 offset1:169
	ds_read2_b64 v[74:77], v108 offset0:82 offset1:251
	ds_read2_b64 v[70:73], v109 offset0:36 offset1:205
	v_add_f64 v[50:51], v[50:51], v[0:1]
	v_add_f64 v[14:15], v[64:65], v[14:15]
	ds_read2_b64 v[62:65], v110 offset0:54 offset1:223
	ds_read2_b64 v[66:69], v111 offset0:72 offset1:241
	ds_read_b64 v[0:1], v79 offset:13520
	s_waitcnt lgkmcnt(0)
	s_barrier
	buffer_gl0_inv
	s_and_saveexec_b32 s36, vcc_lo
	s_cbranch_execz .LBB0_15
; %bb.14:
	v_add_f64 v[48:49], v[48:49], v[6:7]
	s_mov_b32 s20, 0x2ef20147
	s_mov_b32 s22, 0x24c2f84
	;; [unrolled: 1-line block ×4, first 2 shown]
	v_mul_f64 v[112:113], v[84:85], s[4:5]
	s_mov_b32 s19, 0xbfcea1e5
	s_mov_b32 s18, 0x4bc48dbf
	v_mul_f64 v[132:133], v[106:107], s[20:21]
	v_mul_f64 v[134:135], v[106:107], s[22:23]
	v_mul_f64 v[114:115], v[54:55], s[4:5]
	v_mul_f64 v[116:117], v[54:55], s[6:7]
	v_mul_f64 v[122:123], v[30:31], s[6:7]
	s_mov_b32 s4, 0xb2365da1
	s_mov_b32 s6, 0xd0032e0c
	s_mov_b32 s34, 0x4267c47c
	v_mul_f64 v[118:119], v[46:47], s[10:11]
	v_mul_f64 v[120:121], v[46:47], s[12:13]
	;; [unrolled: 1-line block ×4, first 2 shown]
	s_mov_b32 s5, 0xbfd6b1d8
	s_mov_b32 s7, 0xbfe7f3cc
	v_add_f64 v[48:49], v[56:57], v[48:49]
	v_mul_f64 v[56:57], v[84:85], s[0:1]
	s_mov_b32 s10, 0x93053d00
	s_mov_b32 s27, 0x3fe5384d
	;; [unrolled: 1-line block ×7, first 2 shown]
	v_mul_f64 v[136:137], v[102:103], s[18:19]
	v_mul_f64 v[138:139], v[102:103], s[34:35]
	;; [unrolled: 1-line block ×4, first 2 shown]
	v_fma_f64 v[162:163], v[84:85], s[6:7], v[134:135]
	v_fma_f64 v[134:135], v[84:85], s[6:7], -v[134:135]
	s_mov_b32 s38, 0x42a4c3d2
	v_mul_f64 v[124:125], v[30:31], s[14:15]
	v_mul_f64 v[126:127], v[8:9], s[14:15]
	s_mov_b32 s14, 0xe00740e9
	s_mov_b32 s31, 0x3fedeba7
	;; [unrolled: 1-line block ×4, first 2 shown]
	v_add_f64 v[48:49], v[52:53], v[48:49]
	v_mul_f64 v[52:53], v[4:5], s[0:1]
	s_mov_b32 s0, 0xebaa3ed8
	s_mov_b32 s1, 0x3fbedb7d
	v_add_f64 v[56:57], v[56:57], v[94:95]
	v_add_f64 v[94:95], v[112:113], v[96:97]
	v_fma_f64 v[112:113], v[84:85], s[4:5], v[132:133]
	v_fma_f64 v[132:133], v[84:85], s[4:5], -v[132:133]
	s_mov_b32 s15, 0x3fec55a7
	s_mov_b32 s29, 0x3fea55e2
	;; [unrolled: 1-line block ×3, first 2 shown]
	v_mul_f64 v[140:141], v[104:105], s[34:35]
	v_mul_f64 v[142:143], v[104:105], s[38:39]
	v_mul_f64 v[144:145], v[104:105], s[22:23]
	v_mul_f64 v[104:105], v[104:105], s[30:31]
	v_mul_f64 v[146:147], v[100:101], s[34:35]
	v_mul_f64 v[148:149], v[100:101], s[24:25]
	v_add_f64 v[134:135], v[6:7], v[134:135]
	s_mov_b32 s16, 0x1ea71119
	s_mov_b32 s17, 0x3fe22d96
	v_mul_f64 v[150:151], v[98:99], s[34:35]
	v_mul_f64 v[152:153], v[98:99], s[20:21]
	v_add_f64 v[44:45], v[44:45], v[48:49]
	v_mul_f64 v[48:49], v[106:107], s[24:25]
	v_mul_f64 v[106:107], v[106:107], s[18:19]
	s_mov_b32 s19, 0x3fcea1e5
	v_add_f64 v[56:57], v[6:7], v[56:57]
	v_add_f64 v[94:95], v[6:7], v[94:95]
	v_mul_f64 v[160:161], v[100:101], s[18:19]
	v_add_f64 v[38:39], v[122:123], v[38:39]
	v_add_f64 v[42:43], v[124:125], v[42:43]
	v_mul_f64 v[154:155], v[34:35], s[22:23]
	v_mul_f64 v[156:157], v[34:35], s[20:21]
	v_add_f64 v[22:23], v[126:127], v[22:23]
	v_add_f64 v[26:27], v[128:129], v[26:27]
	;; [unrolled: 1-line block ×5, first 2 shown]
	v_fma_f64 v[96:97], v[84:85], s[0:1], v[48:49]
	v_fma_f64 v[164:165], v[84:85], s[10:11], v[106:107]
	v_fma_f64 v[106:107], v[84:85], s[10:11], -v[106:107]
	v_fma_f64 v[48:49], v[84:85], s[0:1], -v[48:49]
	v_add_f64 v[84:85], v[114:115], v[90:91]
	v_add_f64 v[90:91], v[116:117], v[92:93]
	v_fma_f64 v[92:93], v[54:55], s[10:11], v[136:137]
	v_fma_f64 v[114:115], v[54:55], s[14:15], v[138:139]
	v_fma_f64 v[116:117], v[54:55], s[14:15], -v[138:139]
	v_fma_f64 v[138:139], v[54:55], s[6:7], -v[158:159]
	v_mul_f64 v[44:45], v[98:99], s[38:39]
	v_fma_f64 v[122:123], v[30:31], s[10:11], -v[160:161]
	v_fma_f64 v[52:53], v[4:5], s[6:7], -v[154:155]
	v_add_f64 v[28:29], v[28:29], v[40:41]
	v_add_f64 v[96:97], v[6:7], v[96:97]
	v_mul_f64 v[40:41], v[100:101], s[28:29]
	v_fma_f64 v[100:101], v[54:55], s[10:11], -v[136:137]
	v_fma_f64 v[136:137], v[54:55], s[6:7], v[158:159]
	v_fma_f64 v[158:159], v[54:55], s[0:1], v[102:103]
	v_fma_f64 v[54:55], v[54:55], s[0:1], -v[102:103]
	v_add_f64 v[102:103], v[6:7], v[112:113]
	v_add_f64 v[112:113], v[6:7], v[132:133]
	;; [unrolled: 1-line block ×8, first 2 shown]
	v_fma_f64 v[88:89], v[46:47], s[14:15], v[140:141]
	v_fma_f64 v[118:119], v[46:47], s[16:17], v[142:143]
	v_fma_f64 v[120:121], v[46:47], s[16:17], -v[142:143]
	v_fma_f64 v[142:143], v[46:47], s[6:7], -v[144:145]
	v_add_f64 v[56:57], v[84:85], v[56:57]
	v_add_f64 v[84:85], v[90:91], v[94:95]
	;; [unrolled: 1-line block ×3, first 2 shown]
	v_mul_f64 v[28:29], v[98:99], s[18:19]
	v_fma_f64 v[98:99], v[46:47], s[14:15], -v[140:141]
	v_fma_f64 v[140:141], v[46:47], s[6:7], v[144:145]
	v_fma_f64 v[144:145], v[46:47], s[4:5], v[104:105]
	v_add_f64 v[90:91], v[92:93], v[96:97]
	v_fma_f64 v[46:47], v[46:47], s[4:5], -v[104:105]
	v_add_f64 v[92:93], v[136:137], v[102:103]
	v_add_f64 v[94:95], v[138:139], v[112:113]
	v_add_f64 v[96:97], v[158:159], v[132:133]
	v_add_f64 v[102:103], v[114:115], v[162:163]
	v_add_f64 v[104:105], v[116:117], v[106:107]
	v_add_f64 v[54:55], v[54:55], v[134:135]
	v_add_f64 v[6:7], v[100:101], v[6:7]
	v_fma_f64 v[100:101], v[30:31], s[14:15], v[146:147]
	v_fma_f64 v[106:107], v[30:31], s[14:15], -v[146:147]
	v_fma_f64 v[112:113], v[30:31], s[0:1], v[148:149]
	v_fma_f64 v[114:115], v[30:31], s[0:1], -v[148:149]
	v_fma_f64 v[116:117], v[30:31], s[10:11], v[160:161]
	v_fma_f64 v[124:125], v[30:31], s[16:17], v[40:41]
	v_fma_f64 v[30:31], v[30:31], s[16:17], -v[40:41]
	v_add_f64 v[40:41], v[48:49], v[56:57]
	v_add_f64 v[24:25], v[36:37], v[24:25]
	;; [unrolled: 1-line block ×3, first 2 shown]
	v_mul_f64 v[36:37], v[34:35], s[28:29]
	v_add_f64 v[56:57], v[144:145], v[90:91]
	v_add_f64 v[84:85], v[88:89], v[92:93]
	;; [unrolled: 1-line block ×8, first 2 shown]
	v_fma_f64 v[46:47], v[8:9], s[14:15], v[150:151]
	v_fma_f64 v[94:95], v[8:9], s[14:15], -v[150:151]
	v_fma_f64 v[96:97], v[8:9], s[4:5], v[152:153]
	v_fma_f64 v[98:99], v[8:9], s[4:5], -v[152:153]
	v_fma_f64 v[102:103], v[8:9], s[10:11], v[28:29]
	v_add_f64 v[24:25], v[32:33], v[24:25]
	v_mul_f64 v[32:33], v[34:35], s[12:13]
	v_fma_f64 v[34:35], v[8:9], s[16:17], v[44:45]
	v_fma_f64 v[44:45], v[8:9], s[16:17], -v[44:45]
	v_fma_f64 v[8:9], v[8:9], s[10:11], -v[28:29]
	v_add_f64 v[28:29], v[38:39], v[40:41]
	v_add_f64 v[38:39], v[42:43], v[48:49]
	;; [unrolled: 1-line block ×10, first 2 shown]
	v_fma_f64 v[86:87], v[4:5], s[4:5], v[156:157]
	v_fma_f64 v[88:89], v[4:5], s[4:5], -v[156:157]
	v_fma_f64 v[90:91], v[4:5], s[16:17], v[36:37]
	v_fma_f64 v[36:37], v[4:5], s[16:17], -v[36:37]
	v_add_f64 v[20:21], v[20:21], v[24:25]
	v_fma_f64 v[24:25], v[4:5], s[6:7], v[154:155]
	v_fma_f64 v[92:93], v[4:5], s[0:1], v[32:33]
	v_fma_f64 v[4:5], v[4:5], s[0:1], -v[32:33]
	v_add_f64 v[22:23], v[22:23], v[28:29]
	v_add_f64 v[26:27], v[26:27], v[38:39]
	;; [unrolled: 1-line block ×22, first 2 shown]
	v_mad_u32_u24 v16, 0x60, v78, v79
	ds_write2_b64 v16, v[18:19], v[20:21] offset0:2 offset1:3
	ds_write2_b64 v16, v[22:23], v[24:25] offset0:4 offset1:5
	;; [unrolled: 1-line block ×5, first 2 shown]
	ds_write2_b64 v16, v[10:11], v[12:13] offset1:1
	ds_write_b64 v16, v[50:51] offset:96
.LBB0_15:
	s_or_b32 exec_lo, exec_lo, s36
	v_and_b32_e32 v4, 0xff, v78
	v_mov_b32_e32 v5, 10
	s_waitcnt lgkmcnt(0)
	s_barrier
	buffer_gl0_inv
	v_mul_lo_u16 v4, 0x4f, v4
	s_mov_b32 s14, 0xf8bb580b
	s_mov_b32 s18, 0x8eee2c13
	;; [unrolled: 1-line block ×4, first 2 shown]
	v_lshrrev_b16 v84, 10, v4
	s_mov_b32 s22, 0xfd768dbf
	s_mov_b32 s15, 0xbfe14ced
	;; [unrolled: 1-line block ×4, first 2 shown]
	v_mul_lo_u16 v4, v84, 13
	s_mov_b32 s21, 0xbfe82f19
	s_mov_b32 s23, 0xbfd207e7
	;; [unrolled: 1-line block ×4, first 2 shown]
	v_sub_nc_u16 v85, v78, v4
	s_mov_b32 s6, 0x640f44db
	s_mov_b32 s12, 0x7f775887
	;; [unrolled: 1-line block ×4, first 2 shown]
	v_mul_u32_u24_sdwa v4, v85, v5 dst_sel:DWORD dst_unused:UNUSED_PAD src0_sel:BYTE_0 src1_sel:DWORD
	s_mov_b32 s5, 0x3fda9628
	s_mov_b32 s7, 0xbfc2375f
	;; [unrolled: 1-line block ×4, first 2 shown]
	v_lshlrev_b32_e32 v8, 4, v4
	s_mov_b32 s27, 0x3fd207e7
	s_mov_b32 s31, 0x3fefac9e
	;; [unrolled: 1-line block ×4, first 2 shown]
	s_clause 0x9
	global_load_dwordx4 v[4:7], v8, s[8:9]
	global_load_dwordx4 v[16:19], v8, s[8:9] offset:16
	global_load_dwordx4 v[20:23], v8, s[8:9] offset:144
	;; [unrolled: 1-line block ×9, first 2 shown]
	ds_read2_b64 v[8:11], v79 offset1:169
	ds_read2_b64 v[38:41], v108 offset0:82 offset1:251
	ds_read2_b64 v[98:101], v109 offset0:36 offset1:205
	;; [unrolled: 1-line block ×4, first 2 shown]
	ds_read_b64 v[28:29], v79 offset:13520
	s_mov_b32 s30, s10
	s_mov_b32 s28, s14
	;; [unrolled: 1-line block ×4, first 2 shown]
	s_waitcnt vmcnt(0) lgkmcnt(0)
	s_barrier
	buffer_gl0_inv
	v_mul_f64 v[12:13], v[10:11], v[6:7]
	v_mul_f64 v[46:47], v[38:39], v[18:19]
	;; [unrolled: 1-line block ×16, first 2 shown]
	v_fma_f64 v[54:55], v[60:61], v[4:5], -v[12:13]
	v_mul_f64 v[12:13], v[0:1], v[22:23]
	v_fma_f64 v[74:75], v[74:75], v[16:17], -v[46:47]
	v_mul_f64 v[60:61], v[68:69], v[32:33]
	v_mul_f64 v[22:23], v[28:29], v[22:23]
	v_fma_f64 v[56:57], v[10:11], v[4:5], v[6:7]
	v_fma_f64 v[76:77], v[76:77], v[24:25], -v[52:53]
	v_mul_f64 v[32:33], v[108:109], v[32:33]
	v_fma_f64 v[44:45], v[38:39], v[16:17], v[18:19]
	v_fma_f64 v[52:53], v[70:71], v[34:35], -v[110:111]
	v_fma_f64 v[46:47], v[40:41], v[24:25], v[26:27]
	v_fma_f64 v[38:39], v[98:99], v[34:35], v[36:37]
	v_fma_f64 v[40:41], v[72:73], v[42:43], -v[112:113]
	v_fma_f64 v[36:37], v[100:101], v[42:43], v[118:119]
	v_fma_f64 v[42:43], v[62:63], v[90:91], -v[120:121]
	v_fma_f64 v[62:63], v[66:67], v[86:87], -v[88:89]
	v_add_f64 v[116:117], v[58:59], v[54:55]
	v_fma_f64 v[48:49], v[28:29], v[20:21], v[12:13]
	v_fma_f64 v[12:13], v[106:107], v[86:87], v[114:115]
	;; [unrolled: 1-line block ×3, first 2 shown]
	v_fma_f64 v[70:71], v[0:1], v[20:21], -v[22:23]
	v_fma_f64 v[60:61], v[64:65], v[94:95], -v[96:97]
	v_fma_f64 v[28:29], v[104:105], v[94:95], v[122:123]
	v_fma_f64 v[68:69], v[68:69], v[30:31], -v[32:33]
	v_fma_f64 v[30:31], v[102:103], v[90:91], v[92:93]
	v_add_f64 v[32:33], v[40:41], v[42:43]
	v_add_f64 v[24:25], v[76:77], v[62:63]
	;; [unrolled: 1-line block ×3, first 2 shown]
	v_add_f64 v[0:1], v[56:57], -v[48:49]
	v_add_f64 v[16:17], v[46:47], -v[12:13]
	;; [unrolled: 1-line block ×3, first 2 shown]
	v_add_f64 v[18:19], v[54:55], v[70:71]
	v_add_f64 v[26:27], v[52:53], v[60:61]
	v_add_f64 v[20:21], v[38:39], -v[28:29]
	v_add_f64 v[22:23], v[74:75], v[68:69]
	v_add_f64 v[34:35], v[36:37], -v[30:31]
	v_add_f64 v[4:5], v[4:5], v[76:77]
	v_mul_f64 v[64:65], v[0:1], s[14:15]
	v_mul_f64 v[66:67], v[0:1], s[18:19]
	;; [unrolled: 1-line block ×21, first 2 shown]
	v_add_f64 v[4:5], v[4:5], v[52:53]
	v_fma_f64 v[116:117], v[18:19], s[0:1], -v[64:65]
	v_fma_f64 v[118:119], v[18:19], s[4:5], -v[66:67]
	v_fma_f64 v[66:67], v[18:19], s[4:5], v[66:67]
	v_fma_f64 v[120:121], v[18:19], s[6:7], -v[72:73]
	v_fma_f64 v[122:123], v[18:19], s[12:13], -v[86:87]
	v_fma_f64 v[86:87], v[18:19], s[12:13], v[86:87]
	v_fma_f64 v[124:125], v[18:19], s[16:17], -v[0:1]
	v_fma_f64 v[0:1], v[18:19], s[16:17], v[0:1]
	v_fma_f64 v[72:73], v[18:19], s[6:7], v[72:73]
	;; [unrolled: 1-line block ×3, first 2 shown]
	v_fma_f64 v[126:127], v[22:23], s[4:5], -v[88:89]
	v_fma_f64 v[88:89], v[22:23], s[4:5], v[88:89]
	v_fma_f64 v[128:129], v[22:23], s[12:13], -v[90:91]
	v_fma_f64 v[90:91], v[22:23], s[12:13], v[90:91]
	;; [unrolled: 2-line block ×5, first 2 shown]
	v_fma_f64 v[136:137], v[24:25], s[16:17], -v[98:99]
	v_add_f64 v[4:5], v[4:5], v[40:41]
	v_add_f64 v[22:23], v[58:59], v[116:117]
	;; [unrolled: 1-line block ×11, first 2 shown]
	v_fma_f64 v[124:125], v[24:25], s[6:7], -v[96:97]
	v_fma_f64 v[96:97], v[24:25], s[6:7], v[96:97]
	v_fma_f64 v[98:99], v[24:25], s[16:17], v[98:99]
	v_fma_f64 v[138:139], v[24:25], s[4:5], -v[100:101]
	v_fma_f64 v[100:101], v[24:25], s[4:5], v[100:101]
	v_fma_f64 v[140:141], v[24:25], s[0:1], -v[102:103]
	;; [unrolled: 2-line block ×3, first 2 shown]
	v_fma_f64 v[16:17], v[24:25], s[12:13], v[16:17]
	v_mul_f64 v[114:115], v[34:35], s[28:29]
	v_mul_f64 v[64:65], v[34:35], s[20:21]
	v_add_f64 v[4:5], v[4:5], v[42:43]
	v_add_f64 v[22:23], v[126:127], v[22:23]
	;; [unrolled: 1-line block ×11, first 2 shown]
	v_mul_f64 v[58:59], v[34:35], s[24:25]
	v_mul_f64 v[34:35], v[34:35], s[10:11]
	v_fma_f64 v[72:73], v[26:27], s[12:13], -v[104:105]
	v_fma_f64 v[88:89], v[26:27], s[12:13], v[104:105]
	v_fma_f64 v[92:93], v[26:27], s[6:7], -v[106:107]
	v_fma_f64 v[104:105], v[26:27], s[6:7], v[106:107]
	;; [unrolled: 2-line block ×4, first 2 shown]
	v_fma_f64 v[120:121], v[26:27], s[4:5], -v[20:21]
	v_add_f64 v[4:5], v[4:5], v[60:61]
	v_fma_f64 v[20:21], v[26:27], s[4:5], v[20:21]
	v_add_f64 v[22:23], v[124:125], v[22:23]
	v_add_f64 v[24:25], v[136:137], v[24:25]
	;; [unrolled: 1-line block ×10, first 2 shown]
	v_fma_f64 v[18:19], v[32:33], s[16:17], -v[112:113]
	v_fma_f64 v[96:97], v[32:33], s[16:17], v[112:113]
	v_fma_f64 v[98:99], v[32:33], s[0:1], -v[114:115]
	v_fma_f64 v[100:101], v[32:33], s[0:1], v[114:115]
	;; [unrolled: 2-line block ×5, first 2 shown]
	v_add_f64 v[4:5], v[4:5], v[62:63]
	v_add_f64 v[22:23], v[72:73], v[22:23]
	;; [unrolled: 1-line block ×22, first 2 shown]
	v_mov_b32_e32 v58, 0x478
	v_mov_b32_e32 v59, 3
	v_mul_u32_u24_sdwa v58, v84, v58 dst_sel:DWORD dst_unused:UNUSED_PAD src0_sel:WORD_0 src1_sel:DWORD
	v_lshlrev_b32_sdwa v59, v59, v85 dst_sel:DWORD dst_unused:UNUSED_PAD src0_sel:DWORD src1_sel:BYTE_0
	v_add_f64 v[4:5], v[4:5], v[70:71]
	v_add3_u32 v58, 0, v58, v59
	ds_write2_b64 v58, v[16:17], v[18:19] offset0:26 offset1:39
	ds_write2_b64 v58, v[24:25], v[26:27] offset0:52 offset1:65
	ds_write2_b64 v58, v[32:33], v[34:35] offset0:78 offset1:91
	ds_write2_b64 v58, v[20:21], v[22:23] offset0:104 offset1:117
	ds_write_b64 v58, v[0:1] offset:1040
	ds_write2_b64 v58, v[4:5], v[6:7] offset1:13
	s_waitcnt lgkmcnt(0)
	s_barrier
	buffer_gl0_inv
	s_and_saveexec_b32 s34, vcc_lo
	s_cbranch_execz .LBB0_17
; %bb.16:
	v_add_nc_u32_e32 v0, 0x800, v79
	v_add_nc_u32_e32 v1, 0x1000, v79
	;; [unrolled: 1-line block ×5, first 2 shown]
	ds_read2_b64 v[4:7], v79 offset1:143
	ds_read2_b64 v[16:19], v0 offset0:30 offset1:173
	ds_read2_b64 v[24:27], v1 offset0:60 offset1:203
	;; [unrolled: 1-line block ×5, first 2 shown]
	ds_read_b64 v[82:83], v79 offset:13728
.LBB0_17:
	s_or_b32 exec_lo, exec_lo, s34
	v_add_f64 v[64:65], v[8:9], v[56:57]
	v_add_f64 v[54:55], v[54:55], -v[70:71]
	v_add_f64 v[66:67], v[74:75], -v[68:69]
	v_add_f64 v[56:57], v[56:57], v[48:49]
	v_add_f64 v[52:53], v[52:53], -v[60:61]
	v_add_f64 v[59:60], v[38:39], v[28:29]
	v_add_f64 v[40:41], v[40:41], -v[42:43]
	v_add_f64 v[62:63], v[76:77], -v[62:63]
	v_add_f64 v[68:69], v[36:37], v[30:31]
	s_waitcnt lgkmcnt(0)
	s_barrier
	buffer_gl0_inv
	v_add_f64 v[64:65], v[64:65], v[44:45]
	v_mul_f64 v[42:43], v[54:55], s[14:15]
	v_mul_f64 v[70:71], v[54:55], s[18:19]
	;; [unrolled: 1-line block ×5, first 2 shown]
	v_add_f64 v[44:45], v[44:45], v[10:11]
	v_mul_f64 v[76:77], v[66:67], s[18:19]
	v_mul_f64 v[84:85], v[66:67], s[20:21]
	;; [unrolled: 1-line block ×15, first 2 shown]
	v_add_f64 v[64:65], v[64:65], v[46:47]
	v_fma_f64 v[108:109], v[56:57], s[0:1], v[42:43]
	v_fma_f64 v[110:111], v[56:57], s[4:5], v[70:71]
	v_fma_f64 v[70:71], v[56:57], s[4:5], -v[70:71]
	v_fma_f64 v[112:113], v[56:57], s[6:7], v[72:73]
	v_fma_f64 v[114:115], v[56:57], s[12:13], v[74:75]
	v_fma_f64 v[74:75], v[56:57], s[12:13], -v[74:75]
	v_fma_f64 v[116:117], v[56:57], s[16:17], v[54:55]
	v_fma_f64 v[54:55], v[56:57], s[16:17], -v[54:55]
	v_fma_f64 v[72:73], v[56:57], s[6:7], -v[72:73]
	;; [unrolled: 1-line block ×3, first 2 shown]
	v_add_f64 v[46:47], v[46:47], v[12:13]
	v_fma_f64 v[56:57], v[44:45], s[4:5], v[76:77]
	v_fma_f64 v[76:77], v[44:45], s[4:5], -v[76:77]
	v_fma_f64 v[118:119], v[44:45], s[12:13], v[84:85]
	v_fma_f64 v[84:85], v[44:45], s[12:13], -v[84:85]
	;; [unrolled: 2-line block ×5, first 2 shown]
	v_add_f64 v[38:39], v[64:65], v[38:39]
	v_mul_f64 v[64:65], v[62:63], s[26:27]
	v_mul_f64 v[61:62], v[62:63], s[20:21]
	v_add_f64 v[66:67], v[8:9], v[108:109]
	v_add_f64 v[108:109], v[8:9], v[110:111]
	;; [unrolled: 1-line block ×10, first 2 shown]
	v_fma_f64 v[42:43], v[46:47], s[6:7], v[90:91]
	v_fma_f64 v[90:91], v[46:47], s[6:7], -v[90:91]
	v_fma_f64 v[126:127], v[46:47], s[4:5], v[92:93]
	v_fma_f64 v[92:93], v[46:47], s[4:5], -v[92:93]
	;; [unrolled: 2-line block ×3, first 2 shown]
	v_add_f64 v[36:37], v[38:39], v[36:37]
	v_fma_f64 v[116:117], v[46:47], s[16:17], v[64:65]
	v_fma_f64 v[63:64], v[46:47], s[16:17], -v[64:65]
	v_fma_f64 v[130:131], v[46:47], s[12:13], v[61:62]
	v_fma_f64 v[46:47], v[46:47], s[12:13], -v[61:62]
	v_add_f64 v[56:57], v[56:57], v[66:67]
	v_add_f64 v[61:62], v[118:119], v[108:109]
	;; [unrolled: 1-line block ×10, first 2 shown]
	v_mul_f64 v[38:39], v[40:41], s[20:21]
	v_fma_f64 v[72:73], v[59:60], s[12:13], -v[96:97]
	v_fma_f64 v[76:77], v[59:60], s[6:7], v[98:99]
	v_fma_f64 v[86:87], v[59:60], s[6:7], -v[98:99]
	v_fma_f64 v[98:99], v[59:60], s[0:1], -v[100:101]
	v_fma_f64 v[108:109], v[59:60], s[4:5], v[52:53]
	v_fma_f64 v[52:53], v[59:60], s[4:5], -v[52:53]
	v_add_f64 v[30:31], v[36:37], v[30:31]
	v_mul_f64 v[36:37], v[40:41], s[24:25]
	v_add_f64 v[42:43], v[42:43], v[56:57]
	v_add_f64 v[56:57], v[116:117], v[61:62]
	;; [unrolled: 1-line block ×7, first 2 shown]
	v_fma_f64 v[54:55], v[68:69], s[16:17], -v[104:105]
	v_fma_f64 v[88:89], v[68:69], s[12:13], v[38:39]
	v_fma_f64 v[90:91], v[68:69], s[12:13], -v[38:39]
	v_add_f64 v[28:29], v[30:31], v[28:29]
	v_mul_f64 v[30:31], v[40:41], s[10:11]
	v_fma_f64 v[40:41], v[59:60], s[12:13], v[96:97]
	v_fma_f64 v[96:97], v[59:60], s[0:1], v[100:101]
	v_fma_f64 v[100:101], v[59:60], s[16:17], v[102:103]
	v_fma_f64 v[102:103], v[59:60], s[16:17], -v[102:103]
	v_add_f64 v[59:60], v[63:64], v[65:66]
	v_add_f64 v[63:64], v[128:129], v[84:85]
	;; [unrolled: 1-line block ×3, first 2 shown]
	v_fma_f64 v[74:75], v[68:69], s[0:1], v[106:107]
	v_fma_f64 v[84:85], v[68:69], s[0:1], -v[106:107]
	v_fma_f64 v[92:93], v[68:69], s[4:5], v[36:37]
	v_fma_f64 v[36:37], v[68:69], s[4:5], -v[36:37]
	v_add_f64 v[38:39], v[76:77], v[56:57]
	v_add_f64 v[44:45], v[52:53], v[44:45]
	;; [unrolled: 1-line block ×5, first 2 shown]
	v_fma_f64 v[28:29], v[68:69], s[16:17], v[104:105]
	v_fma_f64 v[94:95], v[68:69], s[6:7], v[30:31]
	v_fma_f64 v[67:68], v[68:69], s[6:7], -v[30:31]
	v_add_f64 v[30:31], v[40:41], v[42:43]
	v_add_f64 v[42:43], v[96:97], v[61:62]
	;; [unrolled: 1-line block ×18, first 2 shown]
	ds_write2_b64 v58, v[28:29], v[30:31] offset0:26 offset1:39
	ds_write2_b64 v58, v[40:41], v[42:43] offset0:52 offset1:65
	;; [unrolled: 1-line block ×4, first 2 shown]
	ds_write_b64 v58, v[12:13] offset:1040
	ds_write2_b64 v58, v[8:9], v[10:11] offset1:13
	s_waitcnt lgkmcnt(0)
	s_barrier
	buffer_gl0_inv
	s_and_saveexec_b32 s0, vcc_lo
	s_cbranch_execnz .LBB0_20
; %bb.18:
	s_or_b32 exec_lo, exec_lo, s0
	s_and_saveexec_b32 s0, s33
	s_cbranch_execnz .LBB0_21
.LBB0_19:
	s_endpgm
.LBB0_20:
	v_add_nc_u32_e32 v12, 0x800, v79
	v_add_nc_u32_e32 v13, 0x1000, v79
	;; [unrolled: 1-line block ×5, first 2 shown]
	ds_read2_b64 v[8:11], v79 offset1:143
	ds_read2_b64 v[28:31], v12 offset0:30 offset1:173
	ds_read2_b64 v[40:43], v13 offset0:60 offset1:203
	;; [unrolled: 1-line block ×5, first 2 shown]
	ds_read_b64 v[50:51], v79 offset:13728
	s_or_b32 exec_lo, exec_lo, s0
	s_and_saveexec_b32 s0, s33
	s_cbranch_execz .LBB0_19
.LBB0_21:
	v_mul_u32_u24_e32 v48, 12, v78
	s_mov_b32 s6, 0x1ea71119
	s_mov_b32 s4, 0x4267c47c
	;; [unrolled: 1-line block ×4, first 2 shown]
	v_lshlrev_b32_e32 v48, 4, v48
	s_mov_b32 s10, 0xebaa3ed8
	s_mov_b32 s11, 0x3fbedb7d
	;; [unrolled: 1-line block ×4, first 2 shown]
	v_add_co_u32 v60, s0, s8, v48
	v_add_co_ci_u32_e64 v61, null, s9, 0, s0
	s_mov_b32 s0, 0xe00740e9
	v_add_co_u32 v64, vcc_lo, 0x860, v60
	v_add_co_ci_u32_e32 v65, vcc_lo, 0, v61, vcc_lo
	v_add_co_u32 v66, vcc_lo, 0x800, v60
	v_add_co_ci_u32_e32 v67, vcc_lo, 0, v61, vcc_lo
	s_clause 0x1
	global_load_dwordx4 v[52:55], v[64:65], off offset:16
	global_load_dwordx4 v[56:59], v[64:65], off offset:32
	v_add_co_u32 v68, vcc_lo, 0x820, v60
	v_add_co_ci_u32_e32 v69, vcc_lo, 0, v61, vcc_lo
	v_add_co_u32 v70, vcc_lo, 0x8a0, v60
	v_add_co_ci_u32_e32 v71, vcc_lo, 0, v61, vcc_lo
	s_mov_b32 s1, 0x3fec55a7
	s_mov_b32 s8, 0x42a4c3d2
	;; [unrolled: 1-line block ×21, first 2 shown]
	v_mov_b32_e32 v79, 0
	v_add_co_u32 v80, vcc_lo, s2, v80
	v_add_co_ci_u32_e32 v81, vcc_lo, s3, v81, vcc_lo
	v_lshlrev_b64 v[78:79], 4, v[78:79]
	s_mov_b32 s3, 0x3fefc445
	s_mov_b32 s2, s12
	;; [unrolled: 1-line block ×5, first 2 shown]
	v_add_co_u32 v78, vcc_lo, v80, v78
	v_add_co_ci_u32_e32 v79, vcc_lo, v81, v79, vcc_lo
	s_mov_b32 s36, s8
	v_add_co_u32 v80, vcc_lo, 0x800, v78
	v_add_co_ci_u32_e32 v81, vcc_lo, 0, v79, vcc_lo
	s_waitcnt vmcnt(1) lgkmcnt(3)
	v_mul_f64 v[48:49], v[44:45], v[52:53]
	v_mul_f64 v[44:45], v[44:45], v[54:55]
	v_fma_f64 v[48:49], v[32:33], v[54:55], v[48:49]
	v_fma_f64 v[44:45], v[32:33], v[52:53], -v[44:45]
	s_waitcnt vmcnt(0)
	v_mul_f64 v[32:33], v[46:47], v[56:57]
	v_mul_f64 v[46:47], v[46:47], v[58:59]
	v_fma_f64 v[32:33], v[34:35], v[58:59], v[32:33]
	v_fma_f64 v[34:35], v[34:35], v[56:57], -v[46:47]
	s_clause 0x1
	global_load_dwordx4 v[52:55], v[66:67], off offset:96
	global_load_dwordx4 v[56:59], v[66:67], off offset:160
	v_add_f64 v[120:121], v[48:49], v[32:33]
	v_add_f64 v[122:123], v[48:49], -v[32:33]
	v_add_f64 v[98:99], v[44:45], v[34:35]
	v_mul_f64 v[100:101], v[120:121], s[20:21]
	v_mul_f64 v[102:103], v[122:123], s[30:31]
	;; [unrolled: 1-line block ×8, first 2 shown]
	s_waitcnt vmcnt(1)
	v_mul_f64 v[46:47], v[42:43], v[52:53]
	v_mul_f64 v[42:43], v[42:43], v[54:55]
	v_fma_f64 v[46:47], v[26:27], v[54:55], v[46:47]
	v_fma_f64 v[26:27], v[26:27], v[52:53], -v[42:43]
	s_clause 0x1
	global_load_dwordx4 v[52:55], v[68:69], off offset:48
	global_load_dwordx4 v[60:63], v[70:71], off offset:16
	s_waitcnt vmcnt(1)
	v_mul_f64 v[42:43], v[40:41], v[52:53]
	v_mul_f64 v[72:73], v[40:41], v[54:55]
	v_fma_f64 v[40:41], v[24:25], v[54:55], v[42:43]
	v_fma_f64 v[24:25], v[24:25], v[52:53], -v[72:73]
	s_clause 0x1
	global_load_dwordx4 v[52:55], v[64:65], off offset:48
	global_load_dwordx4 v[64:67], v[66:67], off offset:32
	s_waitcnt vmcnt(1) lgkmcnt(2)
	v_mul_f64 v[42:43], v[36:37], v[52:53]
	v_mul_f64 v[36:37], v[36:37], v[54:55]
	v_fma_f64 v[42:43], v[20:21], v[54:55], v[42:43]
	v_fma_f64 v[36:37], v[20:21], v[52:53], -v[36:37]
	v_mul_f64 v[20:21], v[38:39], v[56:57]
	v_mul_f64 v[38:39], v[38:39], v[58:59]
	v_add_f64 v[116:117], v[46:47], v[42:43]
	v_add_f64 v[118:119], v[46:47], -v[42:43]
	v_fma_f64 v[20:21], v[22:23], v[58:59], v[20:21]
	v_fma_f64 v[22:23], v[22:23], v[56:57], -v[38:39]
	s_clause 0x1
	global_load_dwordx4 v[52:55], v[68:69], off offset:32
	global_load_dwordx4 v[56:59], v[68:69], off offset:16
	v_mul_f64 v[92:93], v[116:117], s[16:17]
	v_mul_f64 v[94:95], v[118:119], s[26:27]
	v_add_f64 v[112:113], v[40:41], v[20:21]
	v_add_f64 v[114:115], v[40:41], -v[20:21]
	v_mul_f64 v[190:191], v[116:117], s[6:7]
	v_mul_f64 v[192:193], v[118:119], s[8:9]
	;; [unrolled: 1-line block ×12, first 2 shown]
	s_waitcnt vmcnt(1)
	v_mul_f64 v[38:39], v[30:31], v[52:53]
	v_mul_f64 v[30:31], v[30:31], v[54:55]
	v_fma_f64 v[38:39], v[18:19], v[54:55], v[38:39]
	v_fma_f64 v[52:53], v[18:19], v[52:53], -v[30:31]
	s_waitcnt vmcnt(0)
	v_mul_f64 v[18:19], v[28:29], v[56:57]
	v_mul_f64 v[28:29], v[28:29], v[58:59]
	v_fma_f64 v[54:55], v[16:17], v[58:59], v[18:19]
	v_fma_f64 v[56:57], v[16:17], v[56:57], -v[28:29]
	s_waitcnt lgkmcnt(1)
	v_mul_f64 v[16:17], v[12:13], v[60:61]
	v_mul_f64 v[12:13], v[12:13], v[62:63]
	v_fma_f64 v[28:29], v[0:1], v[62:63], v[16:17]
	v_fma_f64 v[30:31], v[0:1], v[60:61], -v[12:13]
	s_clause 0x1
	global_load_dwordx4 v[58:61], v[70:71], off offset:32
	global_load_dwordx4 v[68:71], v[70:71], off offset:48
	v_add_f64 v[108:109], v[38:39], v[28:29]
	v_add_f64 v[110:111], v[38:39], -v[28:29]
	v_mul_f64 v[72:73], v[108:109], s[10:11]
	v_mul_f64 v[74:75], v[110:111], s[12:13]
	;; [unrolled: 1-line block ×7, first 2 shown]
	s_waitcnt vmcnt(1)
	v_mul_f64 v[0:1], v[14:15], v[58:59]
	v_mul_f64 v[12:13], v[14:15], v[60:61]
	v_fma_f64 v[16:17], v[2:3], v[60:61], v[0:1]
	s_waitcnt vmcnt(0) lgkmcnt(0)
	v_mul_f64 v[0:1], v[50:51], v[68:69]
	v_fma_f64 v[18:19], v[2:3], v[58:59], -v[12:13]
	v_mul_f64 v[2:3], v[50:51], v[70:71]
	v_add_f64 v[104:105], v[54:55], v[16:17]
	v_fma_f64 v[12:13], v[82:83], v[70:71], v[0:1]
	v_mul_f64 v[0:1], v[10:11], v[64:65]
	v_fma_f64 v[14:15], v[82:83], v[68:69], -v[2:3]
	v_add_f64 v[60:61], v[56:57], -v[18:19]
	v_add_f64 v[106:107], v[54:55], -v[16:17]
	v_mul_f64 v[62:63], v[104:105], s[6:7]
	v_mul_f64 v[138:139], v[104:105], s[14:15]
	v_fma_f64 v[50:51], v[6:7], v[66:67], v[0:1]
	v_mul_f64 v[0:1], v[10:11], v[66:67]
	v_mul_f64 v[178:179], v[104:105], s[20:21]
	;; [unrolled: 1-line block ×7, first 2 shown]
	v_fma_f64 v[2:3], v[60:61], s[8:9], v[62:63]
	v_add_f64 v[58:59], v[50:51], v[12:13]
	v_fma_f64 v[6:7], v[6:7], v[64:65], -v[0:1]
	v_add_f64 v[130:131], v[50:51], -v[12:13]
	v_add_f64 v[64:65], v[56:57], v[18:19]
	v_add_f64 v[50:51], v[8:9], v[50:51]
	v_mul_f64 v[124:125], v[58:59], s[0:1]
	v_add_f64 v[10:11], v[6:7], -v[14:15]
	v_add_f64 v[126:127], v[6:7], v[14:15]
	v_mul_f64 v[128:129], v[130:131], s[4:5]
	v_fma_f64 v[68:69], v[64:65], s[6:7], -v[66:67]
	v_mul_f64 v[150:151], v[58:59], s[6:7]
	v_mul_f64 v[152:153], v[130:131], s[8:9]
	;; [unrolled: 1-line block ×3, first 2 shown]
	v_add_f64 v[50:51], v[54:55], v[50:51]
	v_fma_f64 v[0:1], v[10:11], s[4:5], v[124:125]
	v_fma_f64 v[170:171], v[126:127], s[14:15], -v[164:165]
	v_fma_f64 v[164:165], v[126:127], s[14:15], v[164:165]
	v_add_f64 v[38:39], v[38:39], v[50:51]
	v_add_f64 v[0:1], v[8:9], v[0:1]
	;; [unrolled: 1-line block ×5, first 2 shown]
	v_fma_f64 v[40:41], v[60:61], s[36:37], v[62:63]
	v_add_f64 v[0:1], v[2:3], v[0:1]
	v_fma_f64 v[2:3], v[126:127], s[0:1], -v[128:129]
	v_add_f64 v[38:39], v[46:47], v[38:39]
	v_fma_f64 v[46:47], v[64:65], s[6:7], v[66:67]
	v_add_f64 v[2:3], v[4:5], v[2:3]
	v_add_f64 v[2:3], v[68:69], v[2:3]
	v_add_f64 v[68:69], v[52:53], -v[30:31]
	v_fma_f64 v[70:71], v[68:69], s[12:13], v[72:73]
	v_add_f64 v[0:1], v[70:71], v[0:1]
	v_add_f64 v[70:71], v[52:53], v[30:31]
	v_fma_f64 v[76:77], v[70:71], s[10:11], -v[74:75]
	v_add_f64 v[2:3], v[76:77], v[2:3]
	v_add_f64 v[76:77], v[24:25], -v[22:23]
	v_fma_f64 v[82:83], v[76:77], s[28:29], v[84:85]
	v_add_f64 v[0:1], v[82:83], v[0:1]
	v_add_f64 v[82:83], v[24:25], v[22:23]
	v_fma_f64 v[88:89], v[82:83], s[14:15], -v[86:87]
	;; [unrolled: 6-line block ×3, first 2 shown]
	v_add_f64 v[132:133], v[96:97], v[2:3]
	v_add_f64 v[96:97], v[44:45], -v[34:35]
	v_fma_f64 v[2:3], v[96:97], s[30:31], v[100:101]
	v_add_f64 v[2:3], v[2:3], v[0:1]
	v_fma_f64 v[0:1], v[98:99], s[20:21], -v[102:103]
	v_add_f64 v[0:1], v[0:1], v[132:133]
	v_mul_f64 v[132:133], v[116:117], s[10:11]
	global_store_dwordx4 v[80:81], v[0:3], off offset:240
	v_fma_f64 v[0:1], v[10:11], s[8:9], v[150:151]
	v_fma_f64 v[2:3], v[60:61], s[28:29], v[138:139]
	v_fma_f64 v[80:81], v[64:65], s[14:15], -v[144:145]
	v_fma_f64 v[150:151], v[10:11], s[36:37], v[150:151]
	v_add_f64 v[0:1], v[8:9], v[0:1]
	v_add_f64 v[150:151], v[8:9], v[150:151]
	;; [unrolled: 1-line block ×3, first 2 shown]
	v_fma_f64 v[2:3], v[126:127], s[6:7], -v[152:153]
	v_fma_f64 v[152:153], v[126:127], s[6:7], v[152:153]
	v_add_f64 v[2:3], v[4:5], v[2:3]
	v_add_f64 v[152:153], v[4:5], v[152:153]
	;; [unrolled: 1-line block ×3, first 2 shown]
	v_fma_f64 v[80:81], v[68:69], s[30:31], v[142:143]
	v_add_f64 v[0:1], v[80:81], v[0:1]
	v_fma_f64 v[80:81], v[70:71], s[20:21], -v[140:141]
	v_add_f64 v[2:3], v[80:81], v[2:3]
	v_fma_f64 v[80:81], v[76:77], s[22:23], v[136:137]
	v_add_f64 v[0:1], v[80:81], v[0:1]
	v_fma_f64 v[80:81], v[82:83], s[16:17], -v[134:135]
	v_add_f64 v[2:3], v[80:81], v[2:3]
	v_fma_f64 v[80:81], v[88:89], s[2:3], v[132:133]
	v_add_f64 v[0:1], v[80:81], v[0:1]
	v_mul_f64 v[80:81], v[118:119], s[2:3]
	v_fma_f64 v[146:147], v[90:91], s[10:11], -v[80:81]
	v_add_f64 v[146:147], v[146:147], v[2:3]
	v_mul_f64 v[2:3], v[120:121], s[0:1]
	v_mul_f64 v[120:121], v[120:121], s[10:11]
	v_fma_f64 v[148:149], v[96:97], s[34:35], v[2:3]
	v_fma_f64 v[2:3], v[96:97], s[4:5], v[2:3]
	v_add_f64 v[148:149], v[148:149], v[0:1]
	v_mul_f64 v[0:1], v[122:123], s[34:35]
	v_mul_f64 v[122:123], v[122:123], s[2:3]
	v_fma_f64 v[154:155], v[98:99], s[0:1], -v[0:1]
	v_fma_f64 v[0:1], v[98:99], s[0:1], v[0:1]
	v_add_f64 v[146:147], v[154:155], v[146:147]
	v_add_co_u32 v154, vcc_lo, 0x1000, v78
	v_add_co_ci_u32_e32 v155, vcc_lo, 0, v79, vcc_lo
	global_store_dwordx4 v[154:155], v[146:149], off offset:480
	v_mul_f64 v[146:147], v[58:59], s[20:21]
	v_mul_f64 v[148:149], v[58:59], s[16:17]
	;; [unrolled: 1-line block ×4, first 2 shown]
	v_fma_f64 v[156:157], v[10:11], s[30:31], v[146:147]
	v_fma_f64 v[146:147], v[10:11], s[24:25], v[146:147]
	;; [unrolled: 1-line block ×9, first 2 shown]
	v_add_f64 v[156:157], v[8:9], v[156:157]
	v_add_f64 v[146:147], v[8:9], v[146:147]
	;; [unrolled: 1-line block ×9, first 2 shown]
	v_mul_f64 v[8:9], v[130:131], s[30:31]
	v_mul_f64 v[10:11], v[130:131], s[26:27]
	;; [unrolled: 1-line block ×3, first 2 shown]
	v_add_f64 v[40:41], v[40:41], v[162:163]
	v_fma_f64 v[166:167], v[126:127], s[20:21], -v[8:9]
	v_fma_f64 v[8:9], v[126:127], s[20:21], v[8:9]
	v_fma_f64 v[168:169], v[126:127], s[16:17], -v[10:11]
	v_fma_f64 v[10:11], v[126:127], s[16:17], v[10:11]
	;; [unrolled: 2-line block ×3, first 2 shown]
	v_fma_f64 v[126:127], v[126:127], s[0:1], v[128:129]
	v_add_f64 v[128:129], v[4:5], v[6:7]
	v_add_f64 v[166:167], v[4:5], v[166:167]
	;; [unrolled: 1-line block ×8, first 2 shown]
	v_fma_f64 v[4:5], v[60:61], s[30:31], v[178:179]
	v_fma_f64 v[8:9], v[64:65], s[20:21], -v[180:181]
	v_add_f64 v[54:55], v[56:57], v[128:129]
	v_add_f64 v[46:47], v[46:47], v[176:177]
	v_add_f64 v[4:5], v[4:5], v[124:125]
	v_add_f64 v[6:7], v[8:9], v[6:7]
	v_fma_f64 v[8:9], v[68:69], s[18:19], v[182:183]
	v_add_f64 v[50:51], v[52:53], v[54:55]
	v_add_f64 v[4:5], v[8:9], v[4:5]
	v_fma_f64 v[8:9], v[70:71], s[14:15], -v[184:185]
	v_add_f64 v[24:25], v[24:25], v[50:51]
	v_fma_f64 v[50:51], v[70:71], s[10:11], v[74:75]
	v_add_f64 v[6:7], v[8:9], v[6:7]
	v_fma_f64 v[8:9], v[76:77], s[34:35], v[186:187]
	v_add_f64 v[24:25], v[26:27], v[24:25]
	v_add_f64 v[26:27], v[48:49], v[38:39]
	v_fma_f64 v[38:39], v[60:61], s[18:19], v[138:139]
	v_fma_f64 v[48:49], v[70:71], s[20:21], v[140:141]
	v_add_f64 v[4:5], v[8:9], v[4:5]
	v_fma_f64 v[8:9], v[82:83], s[0:1], -v[188:189]
	v_add_f64 v[24:25], v[44:45], v[24:25]
	v_fma_f64 v[44:45], v[64:65], s[14:15], v[144:145]
	v_add_f64 v[26:27], v[32:33], v[26:27]
	v_fma_f64 v[32:33], v[68:69], s[24:25], v[142:143]
	v_add_f64 v[38:39], v[38:39], v[150:151]
	v_add_f64 v[6:7], v[8:9], v[6:7]
	v_fma_f64 v[8:9], v[88:89], s[8:9], v[190:191]
	v_add_f64 v[24:25], v[34:35], v[24:25]
	;; [unrolled: 3-line block ×4, first 2 shown]
	v_fma_f64 v[8:9], v[90:91], s[6:7], -v[192:193]
	v_add_f64 v[24:25], v[36:37], v[24:25]
	v_fma_f64 v[36:37], v[76:77], s[26:27], v[136:137]
	v_add_f64 v[38:39], v[48:49], v[44:45]
	v_fma_f64 v[44:45], v[82:83], s[16:17], v[134:135]
	v_add_f64 v[34:35], v[34:35], v[40:41]
	v_add_f64 v[20:21], v[20:21], v[26:27]
	v_fma_f64 v[48:49], v[82:83], s[14:15], v[86:87]
	v_add_f64 v[40:41], v[50:51], v[46:47]
	v_fma_f64 v[26:27], v[88:89], s[22:23], v[92:93]
	v_add_f64 v[8:9], v[8:9], v[6:7]
	v_fma_f64 v[6:7], v[96:97], s[26:27], v[194:195]
	v_add_f64 v[22:23], v[22:23], v[24:25]
	v_fma_f64 v[24:25], v[88:89], s[12:13], v[132:133]
	v_add_f64 v[32:33], v[36:37], v[32:33]
	v_add_f64 v[36:37], v[44:45], v[38:39]
	v_fma_f64 v[38:39], v[90:91], s[10:11], v[80:81]
	v_add_f64 v[34:35], v[42:43], v[34:35]
	v_add_f64 v[20:21], v[28:29], v[20:21]
	v_fma_f64 v[44:45], v[90:91], s[16:17], v[94:95]
	v_add_f64 v[40:41], v[48:49], v[40:41]
	v_fma_f64 v[28:29], v[96:97], s[24:25], v[100:101]
	v_add_f64 v[6:7], v[6:7], v[4:5]
	v_fma_f64 v[4:5], v[98:99], s[16:17], -v[196:197]
	v_add_f64 v[22:23], v[30:31], v[22:23]
	v_add_f64 v[24:25], v[24:25], v[32:33]
	v_fma_f64 v[32:33], v[98:99], s[20:21], v[102:103]
	v_add_f64 v[30:31], v[38:39], v[36:37]
	v_add_f64 v[26:27], v[26:27], v[34:35]
	;; [unrolled: 1-line block ×3, first 2 shown]
	v_add_co_u32 v38, vcc_lo, 0x1800, v78
	v_add_f64 v[34:35], v[44:45], v[40:41]
	v_add_co_ci_u32_e32 v39, vcc_lo, 0, v79, vcc_lo
	v_add_f64 v[4:5], v[4:5], v[8:9]
	v_fma_f64 v[8:9], v[60:61], s[22:23], v[198:199]
	v_add_f64 v[36:37], v[18:19], v[22:23]
	v_add_f64 v[2:3], v[2:3], v[24:25]
	v_add_co_u32 v24, vcc_lo, 0x2000, v78
	v_add_co_ci_u32_e32 v25, vcc_lo, 0, v79, vcc_lo
	v_add_f64 v[0:1], v[0:1], v[30:31]
	v_add_co_u32 v30, vcc_lo, 0x2800, v78
	v_add_co_ci_u32_e32 v31, vcc_lo, 0, v79, vcc_lo
	;; [unrolled: 3-line block ×3, first 2 shown]
	v_add_co_u32 v28, vcc_lo, 0x3800, v78
	v_add_co_ci_u32_e32 v29, vcc_lo, 0, v79, vcc_lo
	v_add_f64 v[22:23], v[12:13], v[20:21]
	v_add_f64 v[8:9], v[8:9], v[160:161]
	v_mul_f64 v[160:161], v[106:107], s[22:23]
	v_add_f64 v[20:21], v[14:15], v[36:37]
	v_add_co_u32 v12, vcc_lo, 0x4000, v78
	v_add_f64 v[16:17], v[32:33], v[34:35]
	v_add_co_ci_u32_e32 v13, vcc_lo, 0, v79, vcc_lo
	v_add_co_u32 v14, vcc_lo, 0x5000, v78
	v_add_co_ci_u32_e32 v15, vcc_lo, 0, v79, vcc_lo
	global_store_dwordx4 v[38:39], v[4:7], off offset:720
	v_add_co_u32 v4, vcc_lo, 0x5800, v78
	v_add_co_ci_u32_e32 v5, vcc_lo, 0, v79, vcc_lo
	v_add_co_u32 v6, vcc_lo, 0x6000, v78
	v_add_co_ci_u32_e32 v7, vcc_lo, 0, v79, vcc_lo
	v_add_co_u32 v32, vcc_lo, 0x6800, v78
	v_fma_f64 v[10:11], v[64:65], s[16:17], -v[160:161]
	v_add_co_ci_u32_e32 v33, vcc_lo, 0, v79, vcc_lo
	v_add_f64 v[10:11], v[10:11], v[170:171]
	v_mul_f64 v[170:171], v[108:109], s[0:1]
	v_fma_f64 v[124:125], v[68:69], s[34:35], v[170:171]
	v_add_f64 v[8:9], v[124:125], v[8:9]
	v_fma_f64 v[124:125], v[70:71], s[0:1], -v[200:201]
	v_add_f64 v[10:11], v[124:125], v[10:11]
	v_fma_f64 v[124:125], v[76:77], s[12:13], v[202:203]
	v_add_f64 v[8:9], v[124:125], v[8:9]
	v_fma_f64 v[124:125], v[82:83], s[10:11], -v[204:205]
	v_add_f64 v[10:11], v[124:125], v[10:11]
	;; [unrolled: 4-line block ×4, first 2 shown]
	v_fma_f64 v[124:125], v[60:61], s[2:3], v[214:215]
	v_add_f64 v[124:125], v[124:125], v[158:159]
	v_mul_f64 v[158:159], v[106:107], s[2:3]
	v_fma_f64 v[126:127], v[64:65], s[10:11], -v[158:159]
	v_add_f64 v[126:127], v[126:127], v[168:169]
	v_mul_f64 v[168:169], v[108:109], s[6:7]
	v_mul_f64 v[108:109], v[108:109], s[16:17]
	v_fma_f64 v[216:217], v[68:69], s[8:9], v[168:169]
	v_add_f64 v[124:125], v[216:217], v[124:125]
	v_mul_f64 v[216:217], v[110:111], s[8:9]
	v_mul_f64 v[110:111], v[110:111], s[26:27]
	v_fma_f64 v[218:219], v[70:71], s[6:7], -v[216:217]
	v_add_f64 v[126:127], v[218:219], v[126:127]
	v_mul_f64 v[218:219], v[112:113], s[20:21]
	v_mul_f64 v[112:113], v[112:113], s[6:7]
	v_fma_f64 v[220:221], v[76:77], s[24:25], v[218:219]
	v_add_f64 v[124:125], v[220:221], v[124:125]
	v_mul_f64 v[220:221], v[114:115], s[24:25]
	;; [unrolled: 8-line block ×3, first 2 shown]
	v_mul_f64 v[118:119], v[118:119], s[28:29]
	v_fma_f64 v[226:227], v[90:91], s[0:1], -v[224:225]
	v_add_f64 v[226:227], v[226:227], v[126:127]
	v_fma_f64 v[126:127], v[96:97], s[28:29], v[228:229]
	v_add_f64 v[126:127], v[126:127], v[124:125]
	v_fma_f64 v[124:125], v[98:99], s[14:15], -v[230:231]
	v_add_f64 v[124:125], v[124:125], v[226:227]
	v_mul_f64 v[226:227], v[104:105], s[0:1]
	v_fma_f64 v[104:105], v[60:61], s[34:35], v[226:227]
	v_add_f64 v[104:105], v[104:105], v[156:157]
	v_mul_f64 v[156:157], v[106:107], s[34:35]
	v_fma_f64 v[106:107], v[64:65], s[0:1], -v[156:157]
	v_fma_f64 v[156:157], v[64:65], s[0:1], v[156:157]
	v_add_f64 v[106:107], v[106:107], v[166:167]
	v_fma_f64 v[166:167], v[68:69], s[26:27], v[108:109]
	v_fma_f64 v[108:109], v[68:69], s[22:23], v[108:109]
	v_add_f64 v[156:157], v[156:157], v[172:173]
	v_add_f64 v[104:105], v[166:167], v[104:105]
	v_fma_f64 v[166:167], v[70:71], s[16:17], -v[110:111]
	v_fma_f64 v[110:111], v[70:71], s[16:17], v[110:111]
	v_add_f64 v[106:107], v[166:167], v[106:107]
	v_fma_f64 v[166:167], v[76:77], s[36:37], v[112:113]
	v_fma_f64 v[112:113], v[76:77], s[8:9], v[112:113]
	v_add_f64 v[110:111], v[110:111], v[156:157]
	v_add_f64 v[104:105], v[166:167], v[104:105]
	v_fma_f64 v[166:167], v[82:83], s[6:7], -v[114:115]
	v_add_f64 v[106:107], v[166:167], v[106:107]
	v_fma_f64 v[166:167], v[88:89], s[28:29], v[116:117]
	v_add_f64 v[104:105], v[166:167], v[104:105]
	v_fma_f64 v[166:167], v[90:91], s[14:15], -v[118:119]
	v_add_f64 v[166:167], v[166:167], v[106:107]
	v_fma_f64 v[106:107], v[96:97], s[2:3], v[120:121]
	;; [unrolled: 4-line block ×3, first 2 shown]
	v_add_f64 v[146:147], v[166:167], v[146:147]
	v_add_f64 v[108:109], v[108:109], v[146:147]
	;; [unrolled: 1-line block ×3, first 2 shown]
	v_fma_f64 v[112:113], v[82:83], s[6:7], v[114:115]
	v_fma_f64 v[114:115], v[98:99], s[10:11], v[122:123]
	;; [unrolled: 1-line block ×3, first 2 shown]
	v_add_f64 v[110:111], v[112:113], v[110:111]
	v_fma_f64 v[112:113], v[88:89], s[18:19], v[116:117]
	v_fma_f64 v[116:117], v[68:69], s[36:37], v[168:169]
	v_add_f64 v[108:109], v[112:113], v[108:109]
	v_fma_f64 v[112:113], v[90:91], s[14:15], v[118:119]
	v_fma_f64 v[118:119], v[98:99], s[14:15], v[230:231]
	;; [unrolled: 3-line block ×3, first 2 shown]
	v_add_f64 v[110:111], v[110:111], v[108:109]
	v_add_f64 v[108:109], v[114:115], v[112:113]
	v_fma_f64 v[112:113], v[60:61], s[12:13], v[214:215]
	v_fma_f64 v[114:115], v[64:65], s[10:11], v[158:159]
	v_add_f64 v[112:113], v[112:113], v[148:149]
	v_add_f64 v[114:115], v[114:115], v[174:175]
	v_add_f64 v[112:113], v[116:117], v[112:113]
	v_fma_f64 v[116:117], v[70:71], s[6:7], v[216:217]
	v_add_f64 v[114:115], v[116:117], v[114:115]
	v_fma_f64 v[116:117], v[76:77], s[30:31], v[218:219]
	v_add_f64 v[112:113], v[116:117], v[112:113]
	;; [unrolled: 2-line block ×6, first 2 shown]
	v_add_f64 v[112:113], v[118:119], v[116:117]
	v_fma_f64 v[116:117], v[60:61], s[26:27], v[198:199]
	v_fma_f64 v[118:119], v[64:65], s[16:17], v[160:161]
	v_add_f64 v[116:117], v[116:117], v[154:155]
	v_add_f64 v[118:119], v[118:119], v[164:165]
	;; [unrolled: 1-line block ×3, first 2 shown]
	v_fma_f64 v[120:121], v[70:71], s[0:1], v[200:201]
	v_add_f64 v[118:119], v[120:121], v[118:119]
	v_fma_f64 v[120:121], v[76:77], s[2:3], v[202:203]
	v_add_f64 v[116:117], v[120:121], v[116:117]
	;; [unrolled: 2-line block ×6, first 2 shown]
	v_add_f64 v[116:117], v[122:123], v[120:121]
	v_fma_f64 v[120:121], v[60:61], s[24:25], v[178:179]
	v_fma_f64 v[122:123], v[68:69], s[28:29], v[182:183]
	v_add_f64 v[58:59], v[120:121], v[58:59]
	v_fma_f64 v[120:121], v[64:65], s[20:21], v[180:181]
	v_add_f64 v[58:59], v[122:123], v[58:59]
	v_add_f64 v[120:121], v[120:121], v[130:131]
	v_fma_f64 v[122:123], v[70:71], s[14:15], v[184:185]
	v_fma_f64 v[130:131], v[98:99], s[16:17], v[196:197]
	v_add_f64 v[120:121], v[122:123], v[120:121]
	v_fma_f64 v[122:123], v[76:77], s[4:5], v[186:187]
	v_add_f64 v[58:59], v[122:123], v[58:59]
	;; [unrolled: 2-line block ×6, first 2 shown]
	v_add_f64 v[122:123], v[122:123], v[58:59]
	global_store_dwordx4 v[24:25], v[8:11], off offset:960
	global_store_dwordx4 v[30:31], v[124:127], off offset:1200
	;; [unrolled: 1-line block ×8, first 2 shown]
	global_store_dwordx4 v[78:79], v[20:23], off
	global_store_dwordx4 v[32:33], v[16:19], off offset:832
	s_endpgm
	.section	.rodata,"a",@progbits
	.p2align	6, 0x0
	.amdhsa_kernel fft_rtc_fwd_len1859_factors_13_11_13_wgs_169_tpt_169_halfLds_dp_ip_CI_unitstride_sbrr_dirReg
		.amdhsa_group_segment_fixed_size 0
		.amdhsa_private_segment_fixed_size 0
		.amdhsa_kernarg_size 88
		.amdhsa_user_sgpr_count 6
		.amdhsa_user_sgpr_private_segment_buffer 1
		.amdhsa_user_sgpr_dispatch_ptr 0
		.amdhsa_user_sgpr_queue_ptr 0
		.amdhsa_user_sgpr_kernarg_segment_ptr 1
		.amdhsa_user_sgpr_dispatch_id 0
		.amdhsa_user_sgpr_flat_scratch_init 0
		.amdhsa_user_sgpr_private_segment_size 0
		.amdhsa_wavefront_size32 1
		.amdhsa_uses_dynamic_stack 0
		.amdhsa_system_sgpr_private_segment_wavefront_offset 0
		.amdhsa_system_sgpr_workgroup_id_x 1
		.amdhsa_system_sgpr_workgroup_id_y 0
		.amdhsa_system_sgpr_workgroup_id_z 0
		.amdhsa_system_sgpr_workgroup_info 0
		.amdhsa_system_vgpr_workitem_id 0
		.amdhsa_next_free_vgpr 232
		.amdhsa_next_free_sgpr 44
		.amdhsa_reserve_vcc 1
		.amdhsa_reserve_flat_scratch 0
		.amdhsa_float_round_mode_32 0
		.amdhsa_float_round_mode_16_64 0
		.amdhsa_float_denorm_mode_32 3
		.amdhsa_float_denorm_mode_16_64 3
		.amdhsa_dx10_clamp 1
		.amdhsa_ieee_mode 1
		.amdhsa_fp16_overflow 0
		.amdhsa_workgroup_processor_mode 1
		.amdhsa_memory_ordered 1
		.amdhsa_forward_progress 0
		.amdhsa_shared_vgpr_count 0
		.amdhsa_exception_fp_ieee_invalid_op 0
		.amdhsa_exception_fp_denorm_src 0
		.amdhsa_exception_fp_ieee_div_zero 0
		.amdhsa_exception_fp_ieee_overflow 0
		.amdhsa_exception_fp_ieee_underflow 0
		.amdhsa_exception_fp_ieee_inexact 0
		.amdhsa_exception_int_div_zero 0
	.end_amdhsa_kernel
	.text
.Lfunc_end0:
	.size	fft_rtc_fwd_len1859_factors_13_11_13_wgs_169_tpt_169_halfLds_dp_ip_CI_unitstride_sbrr_dirReg, .Lfunc_end0-fft_rtc_fwd_len1859_factors_13_11_13_wgs_169_tpt_169_halfLds_dp_ip_CI_unitstride_sbrr_dirReg
                                        ; -- End function
	.section	.AMDGPU.csdata,"",@progbits
; Kernel info:
; codeLenInByte = 13792
; NumSgprs: 46
; NumVgprs: 232
; ScratchSize: 0
; MemoryBound: 1
; FloatMode: 240
; IeeeMode: 1
; LDSByteSize: 0 bytes/workgroup (compile time only)
; SGPRBlocks: 5
; VGPRBlocks: 28
; NumSGPRsForWavesPerEU: 46
; NumVGPRsForWavesPerEU: 232
; Occupancy: 4
; WaveLimiterHint : 1
; COMPUTE_PGM_RSRC2:SCRATCH_EN: 0
; COMPUTE_PGM_RSRC2:USER_SGPR: 6
; COMPUTE_PGM_RSRC2:TRAP_HANDLER: 0
; COMPUTE_PGM_RSRC2:TGID_X_EN: 1
; COMPUTE_PGM_RSRC2:TGID_Y_EN: 0
; COMPUTE_PGM_RSRC2:TGID_Z_EN: 0
; COMPUTE_PGM_RSRC2:TIDIG_COMP_CNT: 0
	.text
	.p2alignl 6, 3214868480
	.fill 48, 4, 3214868480
	.type	__hip_cuid_fa89ce8fedef21dd,@object ; @__hip_cuid_fa89ce8fedef21dd
	.section	.bss,"aw",@nobits
	.globl	__hip_cuid_fa89ce8fedef21dd
__hip_cuid_fa89ce8fedef21dd:
	.byte	0                               ; 0x0
	.size	__hip_cuid_fa89ce8fedef21dd, 1

	.ident	"AMD clang version 19.0.0git (https://github.com/RadeonOpenCompute/llvm-project roc-6.4.0 25133 c7fe45cf4b819c5991fe208aaa96edf142730f1d)"
	.section	".note.GNU-stack","",@progbits
	.addrsig
	.addrsig_sym __hip_cuid_fa89ce8fedef21dd
	.amdgpu_metadata
---
amdhsa.kernels:
  - .args:
      - .actual_access:  read_only
        .address_space:  global
        .offset:         0
        .size:           8
        .value_kind:     global_buffer
      - .offset:         8
        .size:           8
        .value_kind:     by_value
      - .actual_access:  read_only
        .address_space:  global
        .offset:         16
        .size:           8
        .value_kind:     global_buffer
      - .actual_access:  read_only
        .address_space:  global
        .offset:         24
        .size:           8
        .value_kind:     global_buffer
      - .offset:         32
        .size:           8
        .value_kind:     by_value
      - .actual_access:  read_only
        .address_space:  global
        .offset:         40
        .size:           8
        .value_kind:     global_buffer
      - .actual_access:  read_only
        .address_space:  global
        .offset:         48
        .size:           8
        .value_kind:     global_buffer
      - .offset:         56
        .size:           4
        .value_kind:     by_value
      - .actual_access:  read_only
        .address_space:  global
        .offset:         64
        .size:           8
        .value_kind:     global_buffer
      - .actual_access:  read_only
        .address_space:  global
        .offset:         72
        .size:           8
        .value_kind:     global_buffer
      - .address_space:  global
        .offset:         80
        .size:           8
        .value_kind:     global_buffer
    .group_segment_fixed_size: 0
    .kernarg_segment_align: 8
    .kernarg_segment_size: 88
    .language:       OpenCL C
    .language_version:
      - 2
      - 0
    .max_flat_workgroup_size: 169
    .name:           fft_rtc_fwd_len1859_factors_13_11_13_wgs_169_tpt_169_halfLds_dp_ip_CI_unitstride_sbrr_dirReg
    .private_segment_fixed_size: 0
    .sgpr_count:     46
    .sgpr_spill_count: 0
    .symbol:         fft_rtc_fwd_len1859_factors_13_11_13_wgs_169_tpt_169_halfLds_dp_ip_CI_unitstride_sbrr_dirReg.kd
    .uniform_work_group_size: 1
    .uses_dynamic_stack: false
    .vgpr_count:     232
    .vgpr_spill_count: 0
    .wavefront_size: 32
    .workgroup_processor_mode: 1
amdhsa.target:   amdgcn-amd-amdhsa--gfx1030
amdhsa.version:
  - 1
  - 2
...

	.end_amdgpu_metadata
